;; amdgpu-corpus repo=ROCm/rocFFT kind=compiled arch=gfx1100 opt=O3
	.text
	.amdgcn_target "amdgcn-amd-amdhsa--gfx1100"
	.amdhsa_code_object_version 6
	.protected	bluestein_single_fwd_len1666_dim1_dp_op_CI_CI ; -- Begin function bluestein_single_fwd_len1666_dim1_dp_op_CI_CI
	.globl	bluestein_single_fwd_len1666_dim1_dp_op_CI_CI
	.p2align	8
	.type	bluestein_single_fwd_len1666_dim1_dp_op_CI_CI,@function
bluestein_single_fwd_len1666_dim1_dp_op_CI_CI: ; @bluestein_single_fwd_len1666_dim1_dp_op_CI_CI
; %bb.0:
	s_load_b128 s[4:7], s[0:1], 0x28
	v_mul_u32_u24_e32 v1, 0x227, v0
	s_mov_b32 s2, exec_lo
	v_mov_b32_e32 v242, 0
	s_delay_alu instid0(VALU_DEP_2) | instskip(NEXT) | instid1(VALU_DEP_1)
	v_lshrrev_b32_e32 v1, 16, v1
	v_add_nc_u32_e32 v241, s15, v1
	s_waitcnt lgkmcnt(0)
	s_delay_alu instid0(VALU_DEP_1)
	v_cmpx_gt_u64_e64 s[4:5], v[241:242]
	s_cbranch_execz .LBB0_15
; %bb.1:
	s_clause 0x1
	s_load_b64 s[12:13], s[0:1], 0x0
	s_load_b64 s[14:15], s[0:1], 0x38
	v_mul_lo_u16 v1, 0x77, v1
	s_delay_alu instid0(VALU_DEP_1) | instskip(NEXT) | instid1(VALU_DEP_1)
	v_sub_nc_u16 v0, v0, v1
	v_and_b32_e32 v242, 0xffff, v0
	v_cmp_gt_u16_e32 vcc_lo, 0x62, v0
	s_delay_alu instid0(VALU_DEP_2)
	v_lshlrev_b32_e32 v255, 4, v242
	s_and_saveexec_b32 s3, vcc_lo
	s_cbranch_execz .LBB0_3
; %bb.2:
	s_load_b64 s[4:5], s[0:1], 0x18
	s_waitcnt lgkmcnt(0)
	v_add_co_u32 v14, s2, s12, v255
	s_delay_alu instid0(VALU_DEP_1) | instskip(NEXT) | instid1(VALU_DEP_2)
	v_add_co_ci_u32_e64 v15, null, s13, 0, s2
	v_add_co_u32 v20, s2, 0x1000, v14
	s_delay_alu instid0(VALU_DEP_1) | instskip(SKIP_1) | instid1(VALU_DEP_1)
	v_add_co_ci_u32_e64 v21, s2, 0, v15, s2
	v_add_co_u32 v28, s2, 0x2000, v14
	v_add_co_ci_u32_e64 v29, s2, 0, v15, s2
	v_add_co_u32 v42, s2, 0x3000, v14
	s_delay_alu instid0(VALU_DEP_1) | instskip(SKIP_4) | instid1(VALU_DEP_1)
	v_add_co_ci_u32_e64 v43, s2, 0, v15, s2
	v_add_co_u32 v52, s2, 0x4000, v14
	s_load_b128 s[8:11], s[4:5], 0x0
	v_add_co_ci_u32_e64 v53, s2, 0, v15, s2
	v_add_co_u32 v120, s2, 0x5000, v14
	v_add_co_ci_u32_e64 v121, s2, 0, v15, s2
	v_add_co_u32 v128, s2, 0x6000, v14
	s_delay_alu instid0(VALU_DEP_1)
	v_add_co_ci_u32_e64 v129, s2, 0, v15, s2
	s_clause 0x2
	global_load_b128 v[0:3], v255, s[12:13]
	global_load_b128 v[4:7], v255, s[12:13] offset:1568
	global_load_b128 v[8:11], v255, s[12:13] offset:3136
	s_waitcnt lgkmcnt(0)
	v_mad_u64_u32 v[40:41], null, s10, v241, 0
	v_mad_u64_u32 v[44:45], null, s8, v242, 0
	s_mul_i32 s4, s9, 0x620
	s_mul_hi_u32 s5, s8, 0x620
	s_delay_alu instid0(SALU_CYCLE_1) | instskip(NEXT) | instid1(VALU_DEP_2)
	s_add_i32 s5, s5, s4
	v_mov_b32_e32 v12, v41
	s_delay_alu instid0(VALU_DEP_2) | instskip(NEXT) | instid1(VALU_DEP_1)
	v_mov_b32_e32 v13, v45
	v_mad_u64_u32 v[24:25], null, s11, v241, v[12:13]
	v_mad_u64_u32 v[45:46], null, s9, v242, v[13:14]
	s_clause 0x2
	global_load_b128 v[12:15], v[20:21], off offset:608
	global_load_b128 v[16:19], v[20:21], off offset:2176
	;; [unrolled: 1-line block ×3, first 2 shown]
	v_mov_b32_e32 v41, v24
	s_clause 0x3
	global_load_b128 v[24:27], v[28:29], off offset:1216
	global_load_b128 v[28:31], v[28:29], off offset:2784
	;; [unrolled: 1-line block ×4, first 2 shown]
	v_lshlrev_b64 v[44:45], 4, v[44:45]
	v_lshlrev_b64 v[46:47], 4, v[40:41]
	global_load_b128 v[40:43], v[42:43], off offset:3392
	v_add_co_u32 v46, s2, s6, v46
	s_delay_alu instid0(VALU_DEP_1) | instskip(SKIP_1) | instid1(VALU_DEP_2)
	v_add_co_ci_u32_e64 v47, s2, s7, v47, s2
	s_mul_i32 s6, s8, 0x620
	v_add_co_u32 v56, s2, v46, v44
	s_delay_alu instid0(VALU_DEP_1) | instskip(SKIP_4) | instid1(VALU_DEP_1)
	v_add_co_ci_u32_e64 v57, s2, v47, v45, s2
	s_clause 0x1
	global_load_b128 v[44:47], v[52:53], off offset:864
	global_load_b128 v[48:51], v[52:53], off offset:2432
	v_add_co_u32 v60, s2, v56, s6
	v_add_co_ci_u32_e64 v61, s2, s5, v57, s2
	global_load_b128 v[52:55], v[52:53], off offset:4000
	v_add_co_u32 v64, s2, v60, s6
	s_delay_alu instid0(VALU_DEP_1) | instskip(SKIP_4) | instid1(VALU_DEP_1)
	v_add_co_ci_u32_e64 v65, s2, s5, v61, s2
	s_clause 0x1
	global_load_b128 v[56:59], v[56:57], off
	global_load_b128 v[60:63], v[60:61], off
	v_add_co_u32 v68, s2, v64, s6
	v_add_co_ci_u32_e64 v69, s2, s5, v65, s2
	s_delay_alu instid0(VALU_DEP_2) | instskip(NEXT) | instid1(VALU_DEP_1)
	v_add_co_u32 v72, s2, v68, s6
	v_add_co_ci_u32_e64 v73, s2, s5, v69, s2
	s_clause 0x1
	global_load_b128 v[64:67], v[64:65], off
	global_load_b128 v[68:71], v[68:69], off
	v_add_co_u32 v76, s2, v72, s6
	s_delay_alu instid0(VALU_DEP_1) | instskip(SKIP_2) | instid1(VALU_DEP_1)
	v_add_co_ci_u32_e64 v77, s2, s5, v73, s2
	global_load_b128 v[72:75], v[72:73], off
	v_add_co_u32 v80, s2, v76, s6
	v_add_co_ci_u32_e64 v81, s2, s5, v77, s2
	global_load_b128 v[76:79], v[76:77], off
	v_add_co_u32 v84, s2, v80, s6
	s_delay_alu instid0(VALU_DEP_1) | instskip(SKIP_2) | instid1(VALU_DEP_1)
	v_add_co_ci_u32_e64 v85, s2, s5, v81, s2
	global_load_b128 v[80:83], v[80:81], off
	v_add_co_u32 v88, s2, v84, s6
	v_add_co_ci_u32_e64 v89, s2, s5, v85, s2
	;; [unrolled: 7-line block ×6, first 2 shown]
	s_clause 0x1
	global_load_b128 v[116:119], v[120:121], off offset:1472
	global_load_b128 v[120:123], v[120:121], off offset:3040
	global_load_b128 v[124:127], v[124:125], off
	global_load_b128 v[128:131], v[128:129], off offset:512
	global_load_b128 v[132:135], v[132:133], off
	s_waitcnt vmcnt(19)
	v_mul_f64 v[136:137], v[58:59], v[2:3]
	v_mul_f64 v[2:3], v[56:57], v[2:3]
	s_waitcnt vmcnt(18)
	v_mul_f64 v[138:139], v[62:63], v[6:7]
	v_mul_f64 v[6:7], v[60:61], v[6:7]
	;; [unrolled: 3-line block ×14, first 2 shown]
	v_fma_f64 v[54:55], v[56:57], v[0:1], v[136:137]
	v_fma_f64 v[56:57], v[58:59], v[0:1], -v[2:3]
	v_fma_f64 v[0:1], v[60:61], v[4:5], v[138:139]
	v_fma_f64 v[2:3], v[62:63], v[4:5], -v[6:7]
	s_waitcnt vmcnt(4)
	v_mul_f64 v[166:167], v[114:115], v[118:119]
	v_mul_f64 v[118:119], v[112:113], v[118:119]
	s_waitcnt vmcnt(2)
	v_mul_f64 v[168:169], v[126:127], v[122:123]
	v_mul_f64 v[122:123], v[124:125], v[122:123]
	;; [unrolled: 3-line block ×3, first 2 shown]
	v_fma_f64 v[4:5], v[64:65], v[8:9], v[140:141]
	v_fma_f64 v[6:7], v[66:67], v[8:9], -v[10:11]
	v_fma_f64 v[8:9], v[68:69], v[12:13], v[142:143]
	v_fma_f64 v[10:11], v[70:71], v[12:13], -v[14:15]
	v_fma_f64 v[12:13], v[72:73], v[16:17], v[144:145]
	v_fma_f64 v[14:15], v[74:75], v[16:17], -v[18:19]
	v_fma_f64 v[16:17], v[76:77], v[20:21], v[146:147]
	v_fma_f64 v[18:19], v[78:79], v[20:21], -v[22:23]
	v_fma_f64 v[20:21], v[80:81], v[24:25], v[148:149]
	v_fma_f64 v[22:23], v[82:83], v[24:25], -v[26:27]
	v_fma_f64 v[24:25], v[84:85], v[28:29], v[150:151]
	v_fma_f64 v[26:27], v[86:87], v[28:29], -v[30:31]
	v_fma_f64 v[28:29], v[88:89], v[32:33], v[152:153]
	v_fma_f64 v[30:31], v[90:91], v[32:33], -v[34:35]
	v_fma_f64 v[32:33], v[92:93], v[36:37], v[154:155]
	v_fma_f64 v[34:35], v[94:95], v[36:37], -v[38:39]
	v_fma_f64 v[36:37], v[96:97], v[40:41], v[156:157]
	v_fma_f64 v[38:39], v[98:99], v[40:41], -v[42:43]
	v_fma_f64 v[40:41], v[100:101], v[44:45], v[158:159]
	v_fma_f64 v[42:43], v[102:103], v[44:45], -v[46:47]
	v_fma_f64 v[44:45], v[104:105], v[48:49], v[160:161]
	v_fma_f64 v[46:47], v[106:107], v[48:49], -v[50:51]
	v_fma_f64 v[48:49], v[108:109], v[52:53], v[162:163]
	v_fma_f64 v[50:51], v[110:111], v[52:53], -v[164:165]
	v_fma_f64 v[58:59], v[112:113], v[116:117], v[166:167]
	v_fma_f64 v[60:61], v[114:115], v[116:117], -v[118:119]
	v_fma_f64 v[62:63], v[124:125], v[120:121], v[168:169]
	v_fma_f64 v[64:65], v[126:127], v[120:121], -v[122:123]
	v_fma_f64 v[66:67], v[132:133], v[128:129], v[170:171]
	v_fma_f64 v[68:69], v[134:135], v[128:129], -v[130:131]
	ds_store_b128 v255, v[54:57]
	ds_store_b128 v255, v[0:3] offset:1568
	ds_store_b128 v255, v[4:7] offset:3136
	;; [unrolled: 1-line block ×16, first 2 shown]
.LBB0_3:
	s_or_b32 exec_lo, exec_lo, s3
	s_clause 0x1
	s_load_b64 s[2:3], s[0:1], 0x20
	s_load_b64 s[0:1], s[0:1], 0x8
	s_waitcnt lgkmcnt(0)
	s_barrier
	buffer_gl0_inv
                                        ; implicit-def: $vgpr12_vgpr13
                                        ; implicit-def: $vgpr32_vgpr33
                                        ; implicit-def: $vgpr36_vgpr37
                                        ; implicit-def: $vgpr40_vgpr41
                                        ; implicit-def: $vgpr44_vgpr45
                                        ; implicit-def: $vgpr52_vgpr53
                                        ; implicit-def: $vgpr56_vgpr57
                                        ; implicit-def: $vgpr64_vgpr65
                                        ; implicit-def: $vgpr72_vgpr73
                                        ; implicit-def: $vgpr76_vgpr77
                                        ; implicit-def: $vgpr68_vgpr69
                                        ; implicit-def: $vgpr60_vgpr61
                                        ; implicit-def: $vgpr48_vgpr49
                                        ; implicit-def: $vgpr28_vgpr29
                                        ; implicit-def: $vgpr24_vgpr25
                                        ; implicit-def: $vgpr20_vgpr21
                                        ; implicit-def: $vgpr16_vgpr17
	s_and_saveexec_b32 s4, vcc_lo
	s_cbranch_execz .LBB0_5
; %bb.4:
	ds_load_b128 v[12:15], v255
	ds_load_b128 v[32:35], v255 offset:1568
	ds_load_b128 v[36:39], v255 offset:3136
	;; [unrolled: 1-line block ×16, first 2 shown]
.LBB0_5:
	s_or_b32 exec_lo, exec_lo, s4
	s_waitcnt lgkmcnt(0)
	v_add_f64 v[164:165], v[34:35], -v[18:19]
	s_mov_b32 s4, 0x5d8e7cdc
	s_mov_b32 s5, 0xbfd71e95
	v_add_f64 v[156:157], v[32:33], v[16:17]
	v_add_f64 v[94:95], v[38:39], -v[22:23]
	s_mov_b32 s6, 0x2a9d6da3
	s_mov_b32 s10, 0x370991
	;; [unrolled: 1-line block ×4, first 2 shown]
	v_add_f64 v[80:81], v[36:37], v[20:21]
	v_add_f64 v[174:175], v[32:33], -v[16:17]
	s_mov_b32 s8, 0x75d4884
	s_mov_b32 s9, 0x3fe7a5f6
	v_add_f64 v[170:171], v[34:35], v[18:19]
	v_add_f64 v[92:93], v[36:37], -v[20:21]
	v_add_f64 v[84:85], v[38:39], v[22:23]
	v_add_f64 v[110:111], v[42:43], -v[26:27]
	s_mov_b32 s18, 0x7c9e640b
	s_mov_b32 s19, 0xbfeca52d
	v_add_f64 v[88:89], v[40:41], v[24:25]
	v_add_f64 v[104:105], v[40:41], -v[24:25]
	s_mov_b32 s16, 0x2b2883cd
	s_mov_b32 s17, 0x3fdc86fa
	;; [unrolled: 4-line block ×5, first 2 shown]
	s_mov_b32 s27, 0xbfeec746
	s_mov_b32 s26, s38
	v_add_f64 v[106:107], v[52:53], v[48:49]
	v_mul_f64 v[158:159], v[164:165], s[4:5]
	v_add_f64 v[136:137], v[52:53], -v[48:49]
	s_mov_b32 s24, 0xc61f0d01
	s_mov_b32 s25, 0xbfd183b1
	v_mul_f64 v[82:83], v[94:95], s[6:7]
	v_add_f64 v[122:123], v[54:55], v[50:51]
	v_add_f64 v[160:161], v[58:59], -v[62:63]
	s_mov_b32 s34, 0x6c9a05f6
	s_mov_b32 s35, 0xbfe9895b
	v_add_f64 v[118:119], v[56:57], v[60:61]
	v_mul_f64 v[172:173], v[174:175], s[4:5]
	v_add_f64 v[152:153], v[56:57], -v[60:61]
	s_mov_b32 s28, 0x6ed5f1bb
	s_mov_b32 s29, 0xbfe348c8
	v_mul_f64 v[86:87], v[92:93], s[6:7]
	v_add_f64 v[132:133], v[58:59], v[62:63]
	v_mul_f64 v[90:91], v[110:111], s[18:19]
	v_add_f64 v[166:167], v[66:67], -v[70:71]
	s_mov_b32 s40, 0x4363dd80
	s_mov_b32 s41, 0x3fe0d888
	v_mul_f64 v[98:99], v[104:105], s[18:19]
	s_mov_b32 s45, 0xbfe0d888
	s_mov_b32 s44, s40
	v_add_f64 v[128:129], v[64:65], v[68:69]
	v_mul_f64 v[102:103], v[126:127], s[22:23]
	v_add_f64 v[154:155], v[64:65], -v[68:69]
	s_mov_b32 s30, 0x910ea3b9
	s_mov_b32 s31, 0xbfeb34fa
	v_mul_f64 v[114:115], v[116:117], s[22:23]
	v_add_f64 v[142:143], v[66:67], v[70:71]
	v_add_f64 v[168:169], v[74:75], -v[78:79]
	s_mov_b32 s42, 0xacd6c6b4
	v_mul_f64 v[108:109], v[146:147], s[26:27]
	s_mov_b32 s43, 0x3fc7851a
	s_mov_b32 s49, 0xbfc7851a
	s_mov_b32 s48, s42
	v_add_f64 v[138:139], v[72:73], v[76:77]
	v_add_f64 v[162:163], v[72:73], -v[76:77]
	v_fma_f64 v[0:1], v[156:157], s[10:11], v[158:159]
	v_mul_f64 v[124:125], v[136:137], s[26:27]
	s_mov_b32 s36, 0x7faef3
	s_mov_b32 s37, 0xbfef7484
	v_fma_f64 v[2:3], v[80:81], s[8:9], v[82:83]
	v_add_f64 v[148:149], v[74:75], v[78:79]
	v_mul_f64 v[120:121], v[160:161], s[34:35]
	v_mul_f64 v[233:234], v[164:165], s[6:7]
	;; [unrolled: 1-line block ×8, first 2 shown]
	v_fma_f64 v[4:5], v[84:85], s[8:9], -v[86:87]
	v_mul_f64 v[186:187], v[126:127], s[48:49]
	v_mul_f64 v[211:212], v[116:117], s[48:49]
	;; [unrolled: 1-line block ×7, first 2 shown]
	s_mov_b32 s47, 0x3feca52d
	s_mov_b32 s46, s18
	;; [unrolled: 1-line block ×3, first 2 shown]
	v_mul_f64 v[144:145], v[154:155], s[44:45]
	v_mul_f64 v[192:193], v[166:167], s[46:47]
	;; [unrolled: 1-line block ×3, first 2 shown]
	s_mov_b32 s50, s4
	v_mul_f64 v[237:238], v[164:165], s[18:19]
	v_mul_f64 v[140:141], v[168:169], s[48:49]
	v_mul_f64 v[194:195], v[168:169], s[50:51]
	v_mul_f64 v[178:179], v[94:95], s[34:35]
	v_mul_f64 v[239:240], v[174:175], s[18:19]
	v_mul_f64 v[199:200], v[92:93], s[34:35]
	v_mul_f64 v[184:185], v[110:111], s[42:43]
	v_mul_f64 v[215:216], v[104:105], s[42:43]
	v_mul_f64 v[150:151], v[162:163], s[48:49]
	v_add_f64 v[0:1], v[12:13], v[0:1]
	v_mul_f64 v[205:206], v[162:163], s[50:51]
	v_mul_f64 v[207:208], v[126:127], s[38:39]
	;; [unrolled: 1-line block ×3, first 2 shown]
	s_mov_b32 s53, 0x3fe58eea
	s_mov_b32 s52, s6
	v_mul_f64 v[217:218], v[160:161], s[4:5]
	v_mul_f64 v[225:226], v[146:147], s[52:53]
	;; [unrolled: 1-line block ×8, first 2 shown]
	s_barrier
	buffer_gl0_inv
	v_add_f64 v[0:1], v[2:3], v[0:1]
	v_fma_f64 v[2:3], v[170:171], s[10:11], -v[172:173]
	s_delay_alu instid0(VALU_DEP_1) | instskip(NEXT) | instid1(VALU_DEP_1)
	v_add_f64 v[2:3], v[14:15], v[2:3]
	v_add_f64 v[2:3], v[4:5], v[2:3]
	v_fma_f64 v[4:5], v[88:89], s[16:17], v[90:91]
	s_delay_alu instid0(VALU_DEP_1) | instskip(SKIP_1) | instid1(VALU_DEP_1)
	v_add_f64 v[0:1], v[4:5], v[0:1]
	v_fma_f64 v[4:5], v[96:97], s[16:17], -v[98:99]
	v_add_f64 v[2:3], v[4:5], v[2:3]
	v_fma_f64 v[4:5], v[100:101], s[20:21], v[102:103]
	s_delay_alu instid0(VALU_DEP_1) | instskip(SKIP_1) | instid1(VALU_DEP_1)
	v_add_f64 v[0:1], v[4:5], v[0:1]
	v_fma_f64 v[4:5], v[112:113], s[20:21], -v[114:115]
	;; [unrolled: 5-line block ×5, first 2 shown]
	v_add_f64 v[2:3], v[4:5], v[2:3]
	v_fma_f64 v[4:5], v[138:139], s[36:37], v[140:141]
	s_delay_alu instid0(VALU_DEP_1) | instskip(SKIP_2) | instid1(VALU_DEP_2)
	v_add_f64 v[243:244], v[4:5], v[0:1]
	v_fma_f64 v[0:1], v[148:149], s[36:37], -v[150:151]
	v_fma_f64 v[4:5], v[84:85], s[20:21], -v[182:183]
	v_add_f64 v[245:246], v[0:1], v[2:3]
	v_fma_f64 v[0:1], v[156:157], s[8:9], v[233:234]
	v_fma_f64 v[2:3], v[80:81], s[20:21], v[176:177]
	s_delay_alu instid0(VALU_DEP_2) | instskip(NEXT) | instid1(VALU_DEP_1)
	v_add_f64 v[0:1], v[12:13], v[0:1]
	v_add_f64 v[0:1], v[2:3], v[0:1]
	v_fma_f64 v[2:3], v[170:171], s[8:9], -v[235:236]
	s_delay_alu instid0(VALU_DEP_1) | instskip(NEXT) | instid1(VALU_DEP_1)
	v_add_f64 v[2:3], v[14:15], v[2:3]
	v_add_f64 v[2:3], v[4:5], v[2:3]
	v_fma_f64 v[4:5], v[88:89], s[28:29], v[180:181]
	s_delay_alu instid0(VALU_DEP_1) | instskip(SKIP_1) | instid1(VALU_DEP_1)
	v_add_f64 v[0:1], v[4:5], v[0:1]
	v_fma_f64 v[4:5], v[96:97], s[28:29], -v[197:198]
	v_add_f64 v[2:3], v[4:5], v[2:3]
	v_fma_f64 v[4:5], v[100:101], s[36:37], v[186:187]
	s_delay_alu instid0(VALU_DEP_1) | instskip(SKIP_1) | instid1(VALU_DEP_1)
	v_add_f64 v[0:1], v[4:5], v[0:1]
	v_fma_f64 v[4:5], v[112:113], s[36:37], -v[211:212]
	;; [unrolled: 5-line block ×5, first 2 shown]
	v_add_f64 v[2:3], v[4:5], v[2:3]
	v_fma_f64 v[4:5], v[138:139], s[10:11], v[194:195]
	s_delay_alu instid0(VALU_DEP_1) | instskip(SKIP_2) | instid1(VALU_DEP_2)
	v_add_f64 v[247:248], v[4:5], v[0:1]
	v_fma_f64 v[0:1], v[148:149], s[10:11], -v[205:206]
	v_fma_f64 v[4:5], v[84:85], s[28:29], -v[199:200]
	v_add_f64 v[249:250], v[0:1], v[2:3]
	v_fma_f64 v[0:1], v[156:157], s[16:17], v[237:238]
	v_fma_f64 v[2:3], v[80:81], s[28:29], v[178:179]
	s_delay_alu instid0(VALU_DEP_2) | instskip(NEXT) | instid1(VALU_DEP_1)
	v_add_f64 v[0:1], v[12:13], v[0:1]
	v_add_f64 v[0:1], v[2:3], v[0:1]
	v_fma_f64 v[2:3], v[170:171], s[16:17], -v[239:240]
	s_delay_alu instid0(VALU_DEP_1) | instskip(NEXT) | instid1(VALU_DEP_1)
	v_add_f64 v[2:3], v[14:15], v[2:3]
	v_add_f64 v[2:3], v[4:5], v[2:3]
	v_fma_f64 v[4:5], v[88:89], s[36:37], v[184:185]
	s_delay_alu instid0(VALU_DEP_1) | instskip(SKIP_1) | instid1(VALU_DEP_1)
	v_add_f64 v[0:1], v[4:5], v[0:1]
	v_fma_f64 v[4:5], v[96:97], s[36:37], -v[215:216]
	v_add_f64 v[2:3], v[4:5], v[2:3]
	v_fma_f64 v[4:5], v[100:101], s[24:25], v[207:208]
	s_delay_alu instid0(VALU_DEP_1) | instskip(SKIP_1) | instid1(VALU_DEP_1)
	v_add_f64 v[0:1], v[4:5], v[0:1]
	v_fma_f64 v[4:5], v[112:113], s[24:25], -v[227:228]
	;; [unrolled: 5-line block ×6, first 2 shown]
	v_add_f64 v[253:254], v[0:1], v[2:3]
	s_and_saveexec_b32 s33, vcc_lo
	s_cbranch_execz .LBB0_7
; %bb.6:
	v_add_f64 v[0:1], v[14:15], v[34:35]
	v_add_f64 v[2:3], v[12:13], v[32:33]
	v_mul_f64 v[34:35], v[156:157], s[8:9]
	s_mov_b32 s57, 0x3fefdd0d
	s_mov_b32 s56, s22
	v_mul_f64 v[4:5], v[170:171], s[30:31]
	v_mul_f64 v[8:9], v[170:171], s[28:29]
	;; [unrolled: 1-line block ×3, first 2 shown]
	s_mov_b32 s55, 0x3fe9895b
	s_mov_b32 s54, s34
	v_add_f64 v[0:1], v[0:1], v[38:39]
	v_add_f64 v[2:3], v[2:3], v[36:37]
	v_mul_f64 v[38:39], v[164:165], s[48:49]
	v_add_f64 v[34:35], v[34:35], -v[233:234]
	v_mul_f64 v[36:37], v[170:171], s[10:11]
	v_fma_f64 v[6:7], v[174:175], s[40:41], v[4:5]
	v_fma_f64 v[4:5], v[174:175], s[44:45], v[4:5]
	v_fma_f64 v[10:11], v[174:175], s[54:55], v[8:9]
	v_fma_f64 v[8:9], v[174:175], s[34:35], v[8:9]
	v_add_f64 v[32:33], v[235:236], v[32:33]
	v_add_f64 v[0:1], v[0:1], v[42:43]
	;; [unrolled: 1-line block ×3, first 2 shown]
	v_mul_f64 v[40:41], v[164:165], s[44:45]
	v_mul_f64 v[42:43], v[164:165], s[34:35]
	v_add_f64 v[36:37], v[172:173], v[36:37]
	v_add_f64 v[34:35], v[12:13], v[34:35]
	;; [unrolled: 1-line block ×7, first 2 shown]
	v_mul_f64 v[172:173], v[160:161], s[44:45]
	v_add_f64 v[0:1], v[0:1], v[46:47]
	v_add_f64 v[2:3], v[2:3], v[44:45]
	v_mul_f64 v[44:45], v[164:165], s[26:27]
	v_mul_f64 v[46:47], v[164:165], s[22:23]
	s_delay_alu instid0(VALU_DEP_4) | instskip(NEXT) | instid1(VALU_DEP_4)
	v_add_f64 v[0:1], v[0:1], v[54:55]
	v_add_f64 v[2:3], v[2:3], v[52:53]
	s_delay_alu instid0(VALU_DEP_4)
	v_fma_f64 v[54:55], v[156:157], s[24:25], v[44:45]
	v_fma_f64 v[52:53], v[156:157], s[28:29], v[42:43]
	v_fma_f64 v[42:43], v[156:157], s[28:29], -v[42:43]
	v_fma_f64 v[44:45], v[156:157], s[24:25], -v[44:45]
	v_add_f64 v[0:1], v[0:1], v[58:59]
	v_add_f64 v[2:3], v[2:3], v[56:57]
	v_mul_f64 v[58:59], v[156:157], s[10:11]
	v_fma_f64 v[56:57], v[156:157], s[20:21], v[46:47]
	v_fma_f64 v[46:47], v[156:157], s[20:21], -v[46:47]
	v_add_f64 v[52:53], v[12:13], v[52:53]
	v_add_f64 v[44:45], v[12:13], v[44:45]
	;; [unrolled: 1-line block ×4, first 2 shown]
	v_add_f64 v[58:59], v[58:59], -v[158:159]
	v_add_f64 v[64:65], v[12:13], v[54:55]
	v_add_f64 v[46:47], v[12:13], v[46:47]
	v_mul_f64 v[158:159], v[148:149], s[20:21]
	v_add_f64 v[0:1], v[0:1], v[74:75]
	v_add_f64 v[2:3], v[2:3], v[72:73]
	;; [unrolled: 1-line block ×4, first 2 shown]
	v_mul_f64 v[36:37], v[122:123], s[28:29]
	v_mul_f64 v[58:59], v[132:133], s[16:17]
	v_add_f64 v[0:1], v[0:1], v[78:79]
	v_add_f64 v[2:3], v[2:3], v[76:77]
	v_mul_f64 v[76:77], v[160:161], s[46:47]
	v_mul_f64 v[78:79], v[142:143], s[24:25]
	s_delay_alu instid0(VALU_DEP_4) | instskip(NEXT) | instid1(VALU_DEP_4)
	v_add_f64 v[0:1], v[0:1], v[70:71]
	v_add_f64 v[2:3], v[2:3], v[68:69]
	;; [unrolled: 1-line block ×3, first 2 shown]
	s_delay_alu instid0(VALU_DEP_3) | instskip(NEXT) | instid1(VALU_DEP_3)
	v_add_f64 v[0:1], v[0:1], v[62:63]
	v_add_f64 v[2:3], v[2:3], v[60:61]
	;; [unrolled: 1-line block ×3, first 2 shown]
	s_delay_alu instid0(VALU_DEP_3) | instskip(NEXT) | instid1(VALU_DEP_3)
	v_add_f64 v[0:1], v[0:1], v[50:51]
	v_add_f64 v[2:3], v[2:3], v[48:49]
	v_fma_f64 v[48:49], v[156:157], s[36:37], v[38:39]
	v_fma_f64 v[38:39], v[156:157], s[36:37], -v[38:39]
	v_fma_f64 v[50:51], v[156:157], s[30:31], v[40:41]
	v_fma_f64 v[40:41], v[156:157], s[30:31], -v[40:41]
	v_add_f64 v[0:1], v[0:1], v[30:31]
	v_add_f64 v[2:3], v[2:3], v[28:29]
	v_mul_f64 v[30:31], v[156:157], s[16:17]
	v_mul_f64 v[28:29], v[170:171], s[16:17]
	v_add_f64 v[48:49], v[12:13], v[48:49]
	v_add_f64 v[38:39], v[12:13], v[38:39]
	;; [unrolled: 1-line block ×4, first 2 shown]
	v_mul_f64 v[156:157], v[166:167], s[26:27]
	v_add_f64 v[0:1], v[0:1], v[26:27]
	v_add_f64 v[2:3], v[2:3], v[24:25]
	v_mul_f64 v[24:25], v[170:171], s[20:21]
	v_add_f64 v[30:31], v[30:31], -v[237:238]
	v_add_f64 v[28:29], v[239:240], v[28:29]
	v_add_f64 v[0:1], v[0:1], v[22:23]
	;; [unrolled: 1-line block ×3, first 2 shown]
	v_mul_f64 v[20:21], v[170:171], s[24:25]
	v_fma_f64 v[26:27], v[174:175], s[56:57], v[24:25]
	v_fma_f64 v[24:25], v[174:175], s[22:23], v[24:25]
	v_add_f64 v[70:71], v[12:13], v[30:31]
	v_add_f64 v[56:57], v[14:15], v[28:29]
	v_mul_f64 v[28:29], v[112:113], s[8:9]
	v_mul_f64 v[30:31], v[126:127], s[52:53]
	v_add_f64 v[18:19], v[0:1], v[18:19]
	v_mul_f64 v[0:1], v[170:171], s[36:37]
	v_fma_f64 v[22:23], v[174:175], s[38:39], v[20:21]
	v_fma_f64 v[20:21], v[174:175], s[26:27], v[20:21]
	v_add_f64 v[16:17], v[2:3], v[16:17]
	v_add_f64 v[42:43], v[14:15], v[24:25]
	v_mul_f64 v[24:25], v[96:97], s[30:31]
	v_add_f64 v[66:67], v[14:15], v[26:27]
	v_mul_f64 v[26:27], v[110:111], s[44:45]
	v_mul_f64 v[170:171], v[132:133], s[30:31]
	v_fma_f64 v[2:3], v[174:175], s[42:43], v[0:1]
	v_fma_f64 v[0:1], v[174:175], s[48:49], v[0:1]
	v_add_f64 v[54:55], v[14:15], v[20:21]
	v_mul_f64 v[20:21], v[84:85], s[10:11]
	v_add_f64 v[62:63], v[14:15], v[22:23]
	v_mul_f64 v[22:23], v[94:95], s[50:51]
	v_mul_f64 v[174:175], v[142:143], s[28:29]
	v_add_f64 v[2:3], v[14:15], v[2:3]
	v_add_f64 v[0:1], v[14:15], v[0:1]
	v_fma_f64 v[14:15], v[104:105], s[40:41], v[24:25]
	v_fma_f64 v[12:13], v[92:93], s[4:5], v[20:21]
	;; [unrolled: 1-line block ×3, first 2 shown]
	s_delay_alu instid0(VALU_DEP_2) | instskip(SKIP_1) | instid1(VALU_DEP_3)
	v_add_f64 v[2:3], v[12:13], v[2:3]
	v_fma_f64 v[12:13], v[80:81], s[10:11], v[22:23]
	v_add_f64 v[0:1], v[20:21], v[0:1]
	v_fma_f64 v[20:21], v[80:81], s[10:11], -v[22:23]
	v_fma_f64 v[22:23], v[104:105], s[44:45], v[24:25]
	v_add_f64 v[2:3], v[14:15], v[2:3]
	v_add_f64 v[12:13], v[12:13], v[48:49]
	v_fma_f64 v[14:15], v[88:89], s[30:31], v[26:27]
	v_add_f64 v[20:21], v[20:21], v[38:39]
	v_add_f64 v[0:1], v[22:23], v[0:1]
	v_fma_f64 v[22:23], v[88:89], s[30:31], -v[26:27]
	v_mul_f64 v[48:49], v[146:147], s[34:35]
	v_mul_f64 v[38:39], v[126:127], s[54:55]
	v_add_f64 v[12:13], v[14:15], v[12:13]
	v_fma_f64 v[14:15], v[116:117], s[6:7], v[28:29]
	v_add_f64 v[20:21], v[22:23], v[20:21]
	v_fma_f64 v[22:23], v[116:117], s[52:53], v[28:29]
	v_mul_f64 v[28:29], v[96:97], s[20:21]
	s_delay_alu instid0(VALU_DEP_4) | instskip(SKIP_1) | instid1(VALU_DEP_4)
	v_add_f64 v[2:3], v[14:15], v[2:3]
	v_fma_f64 v[14:15], v[100:101], s[8:9], v[30:31]
	v_add_f64 v[0:1], v[22:23], v[0:1]
	v_fma_f64 v[22:23], v[100:101], s[8:9], -v[30:31]
	v_fma_f64 v[26:27], v[104:105], s[56:57], v[28:29]
	v_mul_f64 v[30:31], v[110:111], s[22:23]
	v_add_f64 v[12:13], v[14:15], v[12:13]
	v_fma_f64 v[14:15], v[136:137], s[54:55], v[36:37]
	v_add_f64 v[20:21], v[22:23], v[20:21]
	v_fma_f64 v[22:23], v[136:137], s[34:35], v[36:37]
	v_mul_f64 v[36:37], v[112:113], s[28:29]
	s_delay_alu instid0(VALU_DEP_4) | instskip(SKIP_1) | instid1(VALU_DEP_4)
	v_add_f64 v[2:3], v[14:15], v[2:3]
	v_fma_f64 v[14:15], v[106:107], s[28:29], v[48:49]
	v_add_f64 v[0:1], v[22:23], v[0:1]
	v_fma_f64 v[22:23], v[106:107], s[28:29], -v[48:49]
	v_mul_f64 v[48:49], v[122:123], s[10:11]
	s_delay_alu instid0(VALU_DEP_4) | instskip(SKIP_1) | instid1(VALU_DEP_4)
	v_add_f64 v[12:13], v[14:15], v[12:13]
	v_fma_f64 v[14:15], v[152:153], s[18:19], v[58:59]
	v_add_f64 v[20:21], v[22:23], v[20:21]
	v_fma_f64 v[22:23], v[152:153], s[46:47], v[58:59]
	v_mul_f64 v[58:59], v[132:133], s[36:37]
	s_delay_alu instid0(VALU_DEP_4) | instskip(SKIP_1) | instid1(VALU_DEP_4)
	v_add_f64 v[2:3], v[14:15], v[2:3]
	v_fma_f64 v[14:15], v[118:119], s[16:17], v[76:77]
	v_add_f64 v[0:1], v[22:23], v[0:1]
	v_fma_f64 v[22:23], v[118:119], s[16:17], -v[76:77]
	v_mul_f64 v[76:77], v[160:161], s[48:49]
	s_delay_alu instid0(VALU_DEP_4) | instskip(SKIP_1) | instid1(VALU_DEP_4)
	v_add_f64 v[12:13], v[14:15], v[12:13]
	v_fma_f64 v[14:15], v[154:155], s[38:39], v[78:79]
	v_add_f64 v[20:21], v[22:23], v[20:21]
	v_fma_f64 v[22:23], v[154:155], s[26:27], v[78:79]
	v_mul_f64 v[78:79], v[142:143], s[8:9]
	s_delay_alu instid0(VALU_DEP_4) | instskip(SKIP_1) | instid1(VALU_DEP_4)
	v_add_f64 v[2:3], v[14:15], v[2:3]
	v_fma_f64 v[14:15], v[128:129], s[24:25], v[156:157]
	v_add_f64 v[0:1], v[22:23], v[0:1]
	v_fma_f64 v[22:23], v[128:129], s[24:25], -v[156:157]
	v_mul_f64 v[156:157], v[166:167], s[52:53]
	s_delay_alu instid0(VALU_DEP_4) | instskip(SKIP_1) | instid1(VALU_DEP_4)
	v_add_f64 v[12:13], v[14:15], v[12:13]
	v_fma_f64 v[14:15], v[162:163], s[22:23], v[158:159]
	v_add_f64 v[20:21], v[22:23], v[20:21]
	v_fma_f64 v[22:23], v[162:163], s[56:57], v[158:159]
	v_mul_f64 v[158:159], v[148:149], s[24:25]
	s_delay_alu instid0(VALU_DEP_4) | instskip(SKIP_1) | instid1(VALU_DEP_4)
	v_add_f64 v[14:15], v[14:15], v[2:3]
	v_mul_f64 v[2:3], v[168:169], s[56:57]
	v_add_f64 v[22:23], v[22:23], v[0:1]
	v_mul_f64 v[0:1], v[84:85], s[16:17]
	s_delay_alu instid0(VALU_DEP_3) | instskip(SKIP_1) | instid1(VALU_DEP_2)
	v_fma_f64 v[164:165], v[138:139], s[20:21], v[2:3]
	v_fma_f64 v[2:3], v[138:139], s[20:21], -v[2:3]
	v_add_f64 v[12:13], v[164:165], v[12:13]
	s_delay_alu instid0(VALU_DEP_2) | instskip(SKIP_2) | instid1(VALU_DEP_2)
	v_add_f64 v[20:21], v[2:3], v[20:21]
	v_fma_f64 v[2:3], v[92:93], s[18:19], v[0:1]
	v_fma_f64 v[0:1], v[92:93], s[46:47], v[0:1]
	v_add_f64 v[2:3], v[2:3], v[6:7]
	v_mul_f64 v[6:7], v[94:95], s[46:47]
	s_delay_alu instid0(VALU_DEP_3) | instskip(NEXT) | instid1(VALU_DEP_3)
	v_add_f64 v[0:1], v[0:1], v[4:5]
	v_add_f64 v[2:3], v[26:27], v[2:3]
	s_delay_alu instid0(VALU_DEP_3) | instskip(SKIP_3) | instid1(VALU_DEP_4)
	v_fma_f64 v[24:25], v[80:81], s[16:17], v[6:7]
	v_fma_f64 v[26:27], v[88:89], s[20:21], v[30:31]
	v_fma_f64 v[4:5], v[80:81], s[16:17], -v[6:7]
	v_fma_f64 v[6:7], v[104:105], s[22:23], v[28:29]
	v_add_f64 v[24:25], v[24:25], v[50:51]
	v_mul_f64 v[50:51], v[146:147], s[4:5]
	s_delay_alu instid0(VALU_DEP_4) | instskip(NEXT) | instid1(VALU_DEP_4)
	v_add_f64 v[4:5], v[4:5], v[40:41]
	v_add_f64 v[0:1], v[6:7], v[0:1]
	v_fma_f64 v[6:7], v[88:89], s[20:21], -v[30:31]
	v_mul_f64 v[40:41], v[80:81], s[20:21]
	v_add_f64 v[24:25], v[26:27], v[24:25]
	v_fma_f64 v[26:27], v[116:117], s[34:35], v[36:37]
	s_delay_alu instid0(VALU_DEP_4)
	v_add_f64 v[4:5], v[6:7], v[4:5]
	v_fma_f64 v[6:7], v[116:117], s[54:55], v[36:37]
	v_add_f64 v[40:41], v[40:41], -v[176:177]
	v_mul_f64 v[36:37], v[100:101], s[36:37]
	v_mul_f64 v[176:177], v[166:167], s[54:55]
	v_add_f64 v[2:3], v[26:27], v[2:3]
	v_fma_f64 v[26:27], v[100:101], s[28:29], v[38:39]
	v_add_f64 v[0:1], v[6:7], v[0:1]
	v_fma_f64 v[6:7], v[100:101], s[28:29], -v[38:39]
	v_mul_f64 v[38:39], v[88:89], s[28:29]
	v_add_f64 v[36:37], v[36:37], -v[186:187]
	v_mul_f64 v[186:187], v[122:123], s[36:37]
	v_add_f64 v[24:25], v[26:27], v[24:25]
	v_fma_f64 v[26:27], v[136:137], s[50:51], v[48:49]
	v_add_f64 v[4:5], v[6:7], v[4:5]
	v_fma_f64 v[6:7], v[136:137], s[4:5], v[48:49]
	v_add_f64 v[38:39], v[38:39], -v[180:181]
	v_mul_f64 v[48:49], v[106:107], s[30:31]
	v_mul_f64 v[180:181], v[110:111], s[52:53]
	v_add_f64 v[2:3], v[26:27], v[2:3]
	v_fma_f64 v[26:27], v[106:107], s[10:11], v[50:51]
	v_add_f64 v[0:1], v[6:7], v[0:1]
	v_fma_f64 v[6:7], v[106:107], s[10:11], -v[50:51]
	v_add_f64 v[48:49], v[48:49], -v[188:189]
	v_mul_f64 v[50:51], v[132:133], s[24:25]
	v_mul_f64 v[188:189], v[146:147], s[48:49]
	v_add_f64 v[24:25], v[26:27], v[24:25]
	v_fma_f64 v[26:27], v[152:153], s[42:43], v[58:59]
	v_add_f64 v[4:5], v[6:7], v[4:5]
	v_fma_f64 v[6:7], v[152:153], s[48:49], v[58:59]
	v_add_f64 v[50:51], v[201:202], v[50:51]
	v_mul_f64 v[58:59], v[96:97], s[8:9]
	v_add_f64 v[2:3], v[26:27], v[2:3]
	v_fma_f64 v[26:27], v[118:119], s[36:37], v[76:77]
	v_add_f64 v[0:1], v[6:7], v[0:1]
	v_fma_f64 v[6:7], v[118:119], s[36:37], -v[76:77]
	v_mul_f64 v[76:77], v[110:111], s[38:39]
	v_mul_f64 v[110:111], v[110:111], s[4:5]
	v_add_f64 v[24:25], v[26:27], v[24:25]
	v_fma_f64 v[26:27], v[154:155], s[6:7], v[78:79]
	v_add_f64 v[4:5], v[6:7], v[4:5]
	v_fma_f64 v[6:7], v[154:155], s[52:53], v[78:79]
	v_mul_f64 v[78:79], v[112:113], s[10:11]
	s_delay_alu instid0(VALU_DEP_4) | instskip(SKIP_1) | instid1(VALU_DEP_4)
	v_add_f64 v[2:3], v[26:27], v[2:3]
	v_fma_f64 v[26:27], v[128:129], s[8:9], v[156:157]
	v_add_f64 v[0:1], v[6:7], v[0:1]
	v_fma_f64 v[6:7], v[128:129], s[8:9], -v[156:157]
	v_mul_f64 v[156:157], v[126:127], s[50:51]
	s_delay_alu instid0(VALU_DEP_4) | instskip(SKIP_1) | instid1(VALU_DEP_4)
	v_add_f64 v[24:25], v[26:27], v[24:25]
	v_fma_f64 v[26:27], v[162:163], s[38:39], v[158:159]
	v_add_f64 v[4:5], v[6:7], v[4:5]
	v_fma_f64 v[6:7], v[162:163], s[26:27], v[158:159]
	v_mul_f64 v[158:159], v[122:123], s[16:17]
	s_delay_alu instid0(VALU_DEP_4) | instskip(SKIP_1) | instid1(VALU_DEP_4)
	v_add_f64 v[26:27], v[26:27], v[2:3]
	v_mul_f64 v[2:3], v[168:169], s[26:27]
	v_add_f64 v[30:31], v[6:7], v[0:1]
	v_mul_f64 v[6:7], v[84:85], s[20:21]
	v_mul_f64 v[0:1], v[122:123], s[30:31]
	s_delay_alu instid0(VALU_DEP_4) | instskip(SKIP_1) | instid1(VALU_DEP_4)
	v_fma_f64 v[164:165], v[138:139], s[24:25], v[2:3]
	v_fma_f64 v[2:3], v[138:139], s[24:25], -v[2:3]
	v_add_f64 v[6:7], v[182:183], v[6:7]
	s_delay_alu instid0(VALU_DEP_4)
	v_add_f64 v[0:1], v[221:222], v[0:1]
	v_mul_f64 v[182:183], v[112:113], s[16:17]
	v_add_f64 v[24:25], v[164:165], v[24:25]
	v_add_f64 v[28:29], v[2:3], v[4:5]
	v_mul_f64 v[4:5], v[96:97], s[28:29]
	v_mul_f64 v[2:3], v[112:113], s[36:37]
	v_add_f64 v[6:7], v[6:7], v[32:33]
	v_add_f64 v[32:33], v[40:41], v[34:35]
	v_mul_f64 v[34:35], v[118:119], s[24:25]
	v_mul_f64 v[40:41], v[88:89], s[36:37]
	;; [unrolled: 1-line block ×4, first 2 shown]
	v_add_f64 v[4:5], v[197:198], v[4:5]
	v_add_f64 v[2:3], v[211:212], v[2:3]
	v_mul_f64 v[196:197], v[166:167], s[4:5]
	v_mul_f64 v[166:167], v[166:167], s[48:49]
	v_add_f64 v[34:35], v[34:35], -v[190:191]
	v_add_f64 v[40:41], v[40:41], -v[184:185]
	v_mul_f64 v[184:185], v[126:127], s[18:19]
	v_mul_f64 v[190:191], v[132:133], s[20:21]
	;; [unrolled: 1-line block ×3, first 2 shown]
	v_add_f64 v[4:5], v[4:5], v[6:7]
	v_add_f64 v[6:7], v[38:39], v[32:33]
	v_mul_f64 v[32:33], v[142:143], s[16:17]
	v_mul_f64 v[38:39], v[100:101], s[24:25]
	s_delay_alu instid0(VALU_DEP_4) | instskip(NEXT) | instid1(VALU_DEP_4)
	v_add_f64 v[2:3], v[2:3], v[4:5]
	v_add_f64 v[4:5], v[36:37], v[6:7]
	v_mul_f64 v[6:7], v[128:129], s[16:17]
	v_add_f64 v[32:33], v[203:204], v[32:33]
	v_add_f64 v[38:39], v[38:39], -v[207:208]
	v_mul_f64 v[202:203], v[112:113], s[30:31]
	v_add_f64 v[0:1], v[0:1], v[2:3]
	v_add_f64 v[2:3], v[48:49], v[4:5]
	v_add_f64 v[6:7], v[6:7], -v[192:193]
	v_mul_f64 v[4:5], v[148:149], s[10:11]
	v_mul_f64 v[48:49], v[80:81], s[28:29]
	;; [unrolled: 1-line block ×4, first 2 shown]
	v_add_f64 v[0:1], v[50:51], v[0:1]
	v_add_f64 v[2:3], v[34:35], v[2:3]
	v_mul_f64 v[34:35], v[138:139], s[10:11]
	v_add_f64 v[4:5], v[205:206], v[4:5]
	v_add_f64 v[48:49], v[48:49], -v[178:179]
	v_mul_f64 v[50:51], v[132:133], s[10:11]
	v_mul_f64 v[178:179], v[148:149], s[8:9]
	;; [unrolled: 1-line block ×4, first 2 shown]
	v_add_f64 v[0:1], v[32:33], v[0:1]
	v_add_f64 v[2:3], v[6:7], v[2:3]
	v_mul_f64 v[6:7], v[84:85], s[28:29]
	v_add_f64 v[36:37], v[34:35], -v[194:195]
	v_add_f64 v[48:49], v[48:49], v[70:71]
	v_add_f64 v[50:51], v[229:230], v[50:51]
	v_mul_f64 v[70:71], v[96:97], s[24:25]
	v_mul_f64 v[194:195], v[142:143], s[10:11]
	v_add_f64 v[34:35], v[4:5], v[0:1]
	v_mul_f64 v[4:5], v[96:97], s[36:37]
	v_add_f64 v[6:7], v[199:200], v[6:7]
	v_add_f64 v[32:33], v[36:37], v[2:3]
	v_mul_f64 v[2:3], v[112:113], s[24:25]
	v_mul_f64 v[0:1], v[122:123], s[8:9]
	;; [unrolled: 1-line block ×5, first 2 shown]
	v_add_f64 v[4:5], v[215:216], v[4:5]
	v_add_f64 v[6:7], v[6:7], v[56:57]
	v_mul_f64 v[56:57], v[118:119], s[10:11]
	v_add_f64 v[2:3], v[227:228], v[2:3]
	v_add_f64 v[0:1], v[231:232], v[0:1]
	v_add_f64 v[36:37], v[36:37], -v[225:226]
	v_add_f64 v[4:5], v[4:5], v[6:7]
	v_add_f64 v[6:7], v[40:41], v[48:49]
	v_mul_f64 v[40:41], v[142:143], s[20:21]
	v_add_f64 v[56:57], v[56:57], -v[217:218]
	s_delay_alu instid0(VALU_DEP_4) | instskip(NEXT) | instid1(VALU_DEP_4)
	v_add_f64 v[2:3], v[2:3], v[4:5]
	v_add_f64 v[4:5], v[38:39], v[6:7]
	s_delay_alu instid0(VALU_DEP_4) | instskip(SKIP_1) | instid1(VALU_DEP_4)
	v_add_f64 v[40:41], v[223:224], v[40:41]
	v_mul_f64 v[6:7], v[128:129], s[20:21]
	v_add_f64 v[0:1], v[0:1], v[2:3]
	s_delay_alu instid0(VALU_DEP_4) | instskip(SKIP_1) | instid1(VALU_DEP_4)
	v_add_f64 v[2:3], v[36:37], v[4:5]
	v_mul_f64 v[4:5], v[148:149], s[30:31]
	v_add_f64 v[6:7], v[6:7], -v[213:214]
	v_mul_f64 v[36:37], v[138:139], s[30:31]
	v_add_f64 v[0:1], v[50:51], v[0:1]
	v_add_f64 v[2:3], v[56:57], v[2:3]
	;; [unrolled: 1-line block ×3, first 2 shown]
	v_mul_f64 v[56:57], v[94:95], s[40:41]
	v_add_f64 v[36:37], v[36:37], -v[209:210]
	v_mul_f64 v[208:209], v[142:143], s[36:37]
	v_mul_f64 v[210:211], v[148:149], s[16:17]
	v_add_f64 v[0:1], v[40:41], v[0:1]
	v_add_f64 v[2:3], v[6:7], v[2:3]
	v_fma_f64 v[40:41], v[104:105], s[38:39], v[70:71]
	v_fma_f64 v[48:49], v[80:81], s[30:31], -v[56:57]
	s_delay_alu instid0(VALU_DEP_4)
	v_add_f64 v[38:39], v[4:5], v[0:1]
	v_mul_f64 v[0:1], v[84:85], s[36:37]
	v_add_f64 v[36:37], v[36:37], v[2:3]
	v_mul_f64 v[4:5], v[94:95], s[48:49]
	v_add_f64 v[44:45], v[48:49], v[44:45]
	v_fma_f64 v[48:49], v[104:105], s[52:53], v[58:59]
	v_mul_f64 v[94:95], v[94:95], s[38:39]
	v_fma_f64 v[2:3], v[92:93], s[48:49], v[0:1]
	v_fma_f64 v[0:1], v[92:93], s[42:43], v[0:1]
	v_fma_f64 v[6:7], v[80:81], s[36:37], -v[4:5]
	v_fma_f64 v[4:5], v[80:81], s[36:37], v[4:5]
	s_delay_alu instid0(VALU_DEP_4) | instskip(NEXT) | instid1(VALU_DEP_4)
	v_add_f64 v[2:3], v[2:3], v[42:43]
	v_add_f64 v[0:1], v[0:1], v[66:67]
	s_delay_alu instid0(VALU_DEP_4) | instskip(NEXT) | instid1(VALU_DEP_4)
	v_add_f64 v[6:7], v[6:7], v[46:47]
	v_add_f64 v[4:5], v[4:5], v[68:69]
	v_mul_f64 v[66:67], v[106:107], s[24:25]
	v_mul_f64 v[68:69], v[132:133], s[28:29]
	v_add_f64 v[2:3], v[40:41], v[2:3]
	v_fma_f64 v[40:41], v[88:89], s[24:25], -v[76:77]
	s_delay_alu instid0(VALU_DEP_4) | instskip(NEXT) | instid1(VALU_DEP_4)
	v_add_f64 v[66:67], v[66:67], -v[108:109]
	v_add_f64 v[68:69], v[134:135], v[68:69]
	s_delay_alu instid0(VALU_DEP_3) | instskip(SKIP_1) | instid1(VALU_DEP_1)
	v_add_f64 v[6:7], v[40:41], v[6:7]
	v_fma_f64 v[40:41], v[116:117], s[50:51], v[78:79]
	v_add_f64 v[2:3], v[40:41], v[2:3]
	v_fma_f64 v[40:41], v[100:101], s[10:11], -v[156:157]
	s_delay_alu instid0(VALU_DEP_1) | instskip(SKIP_1) | instid1(VALU_DEP_1)
	v_add_f64 v[6:7], v[40:41], v[6:7]
	v_fma_f64 v[40:41], v[136:137], s[18:19], v[158:159]
	v_add_f64 v[2:3], v[40:41], v[2:3]
	v_fma_f64 v[40:41], v[106:107], s[16:17], -v[164:165]
	s_delay_alu instid0(VALU_DEP_1) | instskip(SKIP_1) | instid1(VALU_DEP_1)
	;; [unrolled: 5-line block ×4, first 2 shown]
	v_add_f64 v[6:7], v[40:41], v[6:7]
	v_fma_f64 v[40:41], v[162:163], s[52:53], v[178:179]
	v_add_f64 v[42:43], v[40:41], v[2:3]
	v_mul_f64 v[2:3], v[168:169], s[52:53]
	v_mul_f64 v[168:169], v[168:169], s[46:47]
	s_delay_alu instid0(VALU_DEP_2) | instskip(SKIP_1) | instid1(VALU_DEP_2)
	v_fma_f64 v[40:41], v[138:139], s[8:9], -v[2:3]
	v_fma_f64 v[2:3], v[138:139], s[8:9], v[2:3]
	v_add_f64 v[40:41], v[40:41], v[6:7]
	v_mul_f64 v[6:7], v[84:85], s[30:31]
	s_delay_alu instid0(VALU_DEP_1) | instskip(SKIP_1) | instid1(VALU_DEP_2)
	v_fma_f64 v[46:47], v[92:93], s[40:41], v[6:7]
	v_fma_f64 v[6:7], v[92:93], s[44:45], v[6:7]
	v_add_f64 v[46:47], v[46:47], v[54:55]
	v_mul_f64 v[54:55], v[84:85], s[24:25]
	s_delay_alu instid0(VALU_DEP_3) | instskip(SKIP_1) | instid1(VALU_DEP_4)
	v_add_f64 v[6:7], v[6:7], v[62:63]
	v_fma_f64 v[62:63], v[154:155], s[34:35], v[174:175]
	v_add_f64 v[46:47], v[48:49], v[46:47]
	v_fma_f64 v[48:49], v[88:89], s[8:9], -v[180:181]
	s_delay_alu instid0(VALU_DEP_1) | instskip(SKIP_1) | instid1(VALU_DEP_1)
	v_add_f64 v[44:45], v[48:49], v[44:45]
	v_fma_f64 v[48:49], v[116:117], s[18:19], v[182:183]
	v_add_f64 v[46:47], v[48:49], v[46:47]
	v_fma_f64 v[48:49], v[100:101], s[16:17], -v[184:185]
	s_delay_alu instid0(VALU_DEP_1) | instskip(SKIP_1) | instid1(VALU_DEP_1)
	;; [unrolled: 5-line block ×7, first 2 shown]
	v_add_f64 v[48:49], v[48:49], v[60:61]
	v_mul_f64 v[60:61], v[96:97], s[10:11]
	v_fma_f64 v[50:51], v[104:105], s[4:5], v[60:61]
	s_delay_alu instid0(VALU_DEP_1) | instskip(SKIP_1) | instid1(VALU_DEP_1)
	v_add_f64 v[8:9], v[50:51], v[8:9]
	v_fma_f64 v[50:51], v[88:89], s[10:11], -v[110:111]
	v_add_f64 v[48:49], v[50:51], v[48:49]
	v_fma_f64 v[50:51], v[116:117], s[44:45], v[202:203]
	s_delay_alu instid0(VALU_DEP_1) | instskip(SKIP_1) | instid1(VALU_DEP_1)
	v_add_f64 v[8:9], v[50:51], v[8:9]
	v_fma_f64 v[50:51], v[100:101], s[30:31], -v[126:127]
	v_add_f64 v[48:49], v[50:51], v[48:49]
	;; [unrolled: 5-line block ×6, first 2 shown]
	v_fma_f64 v[8:9], v[92:93], s[26:27], v[54:55]
	s_delay_alu instid0(VALU_DEP_1) | instskip(SKIP_1) | instid1(VALU_DEP_1)
	v_add_f64 v[8:9], v[8:9], v[10:11]
	v_fma_f64 v[10:11], v[80:81], s[24:25], v[94:95]
	v_add_f64 v[10:11], v[10:11], v[52:53]
	v_fma_f64 v[52:53], v[104:105], s[50:51], v[60:61]
	v_fma_f64 v[60:61], v[138:139], s[16:17], v[168:169]
	s_delay_alu instid0(VALU_DEP_2) | instskip(SKIP_1) | instid1(VALU_DEP_1)
	v_add_f64 v[8:9], v[52:53], v[8:9]
	v_fma_f64 v[52:53], v[88:89], s[10:11], v[110:111]
	v_add_f64 v[10:11], v[52:53], v[10:11]
	v_fma_f64 v[52:53], v[116:117], s[40:41], v[202:203]
	s_delay_alu instid0(VALU_DEP_1) | instskip(SKIP_1) | instid1(VALU_DEP_1)
	v_add_f64 v[8:9], v[52:53], v[8:9]
	v_fma_f64 v[52:53], v[100:101], s[30:31], v[126:127]
	v_add_f64 v[10:11], v[52:53], v[10:11]
	v_fma_f64 v[52:53], v[136:137], s[22:23], v[204:205]
	s_delay_alu instid0(VALU_DEP_1) | instskip(SKIP_1) | instid1(VALU_DEP_1)
	;; [unrolled: 5-line block ×4, first 2 shown]
	v_add_f64 v[8:9], v[52:53], v[8:9]
	v_fma_f64 v[52:53], v[128:129], s[36:37], v[166:167]
	v_add_f64 v[10:11], v[52:53], v[10:11]
	v_fma_f64 v[52:53], v[162:163], s[18:19], v[210:211]
	s_delay_alu instid0(VALU_DEP_1) | instskip(NEXT) | instid1(VALU_DEP_3)
	v_add_f64 v[54:55], v[52:53], v[8:9]
	v_add_f64 v[52:53], v[60:61], v[10:11]
	v_fma_f64 v[8:9], v[80:81], s[30:31], v[56:57]
	v_fma_f64 v[10:11], v[104:105], s[6:7], v[58:59]
	;; [unrolled: 1-line block ×4, first 2 shown]
	s_delay_alu instid0(VALU_DEP_4) | instskip(NEXT) | instid1(VALU_DEP_4)
	v_add_f64 v[8:9], v[8:9], v[64:65]
	v_add_f64 v[6:7], v[10:11], v[6:7]
	v_fma_f64 v[10:11], v[88:89], s[8:9], v[180:181]
	v_fma_f64 v[64:65], v[162:163], s[6:7], v[178:179]
	s_delay_alu instid0(VALU_DEP_2) | instskip(SKIP_1) | instid1(VALU_DEP_1)
	v_add_f64 v[8:9], v[10:11], v[8:9]
	v_fma_f64 v[10:11], v[116:117], s[46:47], v[182:183]
	v_add_f64 v[6:7], v[10:11], v[6:7]
	v_fma_f64 v[10:11], v[100:101], s[16:17], v[184:185]
	s_delay_alu instid0(VALU_DEP_1) | instskip(SKIP_1) | instid1(VALU_DEP_1)
	v_add_f64 v[8:9], v[10:11], v[8:9]
	v_fma_f64 v[10:11], v[136:137], s[42:43], v[186:187]
	v_add_f64 v[6:7], v[10:11], v[6:7]
	v_fma_f64 v[10:11], v[106:107], s[36:37], v[188:189]
	s_delay_alu instid0(VALU_DEP_1) | instskip(SKIP_1) | instid1(VALU_DEP_1)
	;; [unrolled: 5-line block ×3, first 2 shown]
	v_add_f64 v[8:9], v[10:11], v[8:9]
	v_fma_f64 v[10:11], v[154:155], s[50:51], v[194:195]
	v_add_f64 v[6:7], v[10:11], v[6:7]
	v_fma_f64 v[10:11], v[128:129], s[10:11], v[196:197]
	s_delay_alu instid0(VALU_DEP_1) | instskip(SKIP_1) | instid1(VALU_DEP_2)
	v_add_f64 v[8:9], v[10:11], v[8:9]
	v_fma_f64 v[10:11], v[162:163], s[54:55], v[198:199]
	v_add_f64 v[56:57], v[56:57], v[8:9]
	s_delay_alu instid0(VALU_DEP_2) | instskip(SKIP_3) | instid1(VALU_DEP_3)
	v_add_f64 v[58:59], v[10:11], v[6:7]
	v_fma_f64 v[10:11], v[104:105], s[26:27], v[70:71]
	v_fma_f64 v[8:9], v[116:117], s[4:5], v[78:79]
	;; [unrolled: 1-line block ×3, first 2 shown]
	v_add_f64 v[0:1], v[10:11], v[0:1]
	v_fma_f64 v[10:11], v[88:89], s[24:25], v[76:77]
	s_delay_alu instid0(VALU_DEP_2) | instskip(NEXT) | instid1(VALU_DEP_2)
	v_add_f64 v[0:1], v[8:9], v[0:1]
	v_add_f64 v[4:5], v[10:11], v[4:5]
	v_fma_f64 v[8:9], v[100:101], s[10:11], v[156:157]
	v_mul_f64 v[10:11], v[80:81], s[8:9]
	s_delay_alu instid0(VALU_DEP_4) | instskip(SKIP_1) | instid1(VALU_DEP_4)
	v_add_f64 v[0:1], v[6:7], v[0:1]
	v_fma_f64 v[6:7], v[106:107], s[16:17], v[164:165]
	v_add_f64 v[4:5], v[8:9], v[4:5]
	v_mul_f64 v[8:9], v[88:89], s[16:17]
	v_add_f64 v[10:11], v[10:11], -v[82:83]
	v_add_f64 v[0:1], v[60:61], v[0:1]
	s_delay_alu instid0(VALU_DEP_4) | instskip(SKIP_4) | instid1(VALU_DEP_4)
	v_add_f64 v[4:5], v[6:7], v[4:5]
	v_fma_f64 v[6:7], v[118:119], s[30:31], v[172:173]
	v_add_f64 v[8:9], v[8:9], -v[90:91]
	v_add_f64 v[10:11], v[10:11], v[74:75]
	v_add_f64 v[0:1], v[62:63], v[0:1]
	;; [unrolled: 1-line block ×3, first 2 shown]
	v_fma_f64 v[6:7], v[128:129], s[28:29], v[176:177]
	s_delay_alu instid0(VALU_DEP_3) | instskip(SKIP_2) | instid1(VALU_DEP_4)
	v_add_f64 v[62:63], v[64:65], v[0:1]
	v_mul_f64 v[0:1], v[112:113], s[20:21]
	v_mul_f64 v[64:65], v[122:123], s[24:25]
	v_add_f64 v[4:5], v[6:7], v[4:5]
	v_mul_f64 v[6:7], v[100:101], s[20:21]
	s_delay_alu instid0(VALU_DEP_4) | instskip(NEXT) | instid1(VALU_DEP_4)
	v_add_f64 v[0:1], v[114:115], v[0:1]
	v_add_f64 v[64:65], v[124:125], v[64:65]
	s_delay_alu instid0(VALU_DEP_4) | instskip(SKIP_3) | instid1(VALU_DEP_3)
	v_add_f64 v[60:61], v[2:3], v[4:5]
	v_mul_f64 v[4:5], v[84:85], s[8:9]
	v_mul_f64 v[2:3], v[96:97], s[16:17]
	v_add_f64 v[6:7], v[6:7], -v[102:103]
	v_add_f64 v[4:5], v[86:87], v[4:5]
	s_delay_alu instid0(VALU_DEP_3) | instskip(NEXT) | instid1(VALU_DEP_2)
	v_add_f64 v[2:3], v[98:99], v[2:3]
	v_add_f64 v[4:5], v[4:5], v[72:73]
	s_delay_alu instid0(VALU_DEP_1) | instskip(SKIP_2) | instid1(VALU_DEP_3)
	v_add_f64 v[2:3], v[2:3], v[4:5]
	v_add_f64 v[4:5], v[8:9], v[10:11]
	v_mul_f64 v[8:9], v[118:119], s[28:29]
	v_add_f64 v[0:1], v[0:1], v[2:3]
	s_delay_alu instid0(VALU_DEP_3) | instskip(SKIP_1) | instid1(VALU_DEP_4)
	v_add_f64 v[2:3], v[6:7], v[4:5]
	v_mul_f64 v[4:5], v[142:143], s[30:31]
	v_add_f64 v[8:9], v[8:9], -v[120:121]
	v_mul_f64 v[6:7], v[128:129], s[30:31]
	v_add_f64 v[0:1], v[64:65], v[0:1]
	v_add_f64 v[2:3], v[66:67], v[2:3]
	;; [unrolled: 1-line block ×3, first 2 shown]
	s_delay_alu instid0(VALU_DEP_4) | instskip(NEXT) | instid1(VALU_DEP_4)
	v_add_f64 v[6:7], v[6:7], -v[130:131]
	v_add_f64 v[0:1], v[68:69], v[0:1]
	s_delay_alu instid0(VALU_DEP_4) | instskip(SKIP_1) | instid1(VALU_DEP_3)
	v_add_f64 v[2:3], v[8:9], v[2:3]
	v_mul_f64 v[8:9], v[148:149], s[36:37]
	v_add_f64 v[0:1], v[4:5], v[0:1]
	v_mul_f64 v[4:5], v[138:139], s[36:37]
	s_delay_alu instid0(VALU_DEP_3) | instskip(SKIP_1) | instid1(VALU_DEP_3)
	v_add_f64 v[8:9], v[150:151], v[8:9]
	v_add_f64 v[2:3], v[6:7], v[2:3]
	v_add_f64 v[4:5], v[4:5], -v[140:141]
	s_delay_alu instid0(VALU_DEP_3) | instskip(SKIP_1) | instid1(VALU_DEP_1)
	v_add_f64 v[66:67], v[8:9], v[0:1]
	v_mul_lo_u16 v0, v242, 17
	v_and_b32_e32 v0, 0xffff, v0
	s_delay_alu instid0(VALU_DEP_1)
	v_lshlrev_b32_e32 v0, 4, v0
	v_add_f64 v[64:65], v[4:5], v[2:3]
	ds_store_b128 v0, v[32:35] offset:32
	ds_store_b128 v0, v[36:39] offset:48
	;; [unrolled: 1-line block ×15, first 2 shown]
	ds_store_b128 v0, v[16:19]
	ds_store_b128 v0, v[243:246] offset:256
.LBB0_7:
	s_or_b32 exec_lo, exec_lo, s33
	v_add_nc_u16 v40, v242, 0x77
	v_and_b32_e32 v0, 0xff, v242
	v_add_co_u32 v2, null, 0x1dc, v242
	v_add_co_u32 v3, null, 0x253, v242
	s_delay_alu instid0(VALU_DEP_4) | instskip(NEXT) | instid1(VALU_DEP_4)
	v_and_b32_e32 v1, 0xff, v40
	v_mul_lo_u16 v16, 0xf1, v0
	v_add_co_u32 v0, null, 0xee, v242
	v_add_co_u32 v6, null, 0x2ca, v242
	s_delay_alu instid0(VALU_DEP_4) | instskip(NEXT) | instid1(VALU_DEP_4)
	v_mul_lo_u16 v41, 0xf1, v1
	v_lshrrev_b16 v17, 12, v16
	v_add_co_u32 v1, null, 0x165, v242
	v_and_b32_e32 v7, 0xffff, v0
	s_delay_alu instid0(VALU_DEP_4) | instskip(NEXT) | instid1(VALU_DEP_4)
	v_lshrrev_b16 v42, 12, v41
	v_mul_lo_u16 v4, v17, 17
	s_delay_alu instid0(VALU_DEP_4)
	v_and_b32_e32 v8, 0xffff, v1
	v_and_b32_e32 v9, 0xffff, v2
	;; [unrolled: 1-line block ×3, first 2 shown]
	v_mul_lo_u16 v5, v42, 17
	v_sub_nc_u16 v4, v242, v4
	s_load_b128 s[4:7], s[2:3], 0x0
	v_mul_u32_u24_e32 v9, 0xf0f1, v9
	v_mul_u32_u24_e32 v10, 0xf0f1, v10
	v_sub_nc_u16 v5, v40, v5
	v_and_b32_e32 v44, 0xff, v4
	v_and_b32_e32 v4, 0xffff, v6
	v_lshrrev_b32_e32 v20, 20, v9
	v_lshrrev_b32_e32 v21, 20, v10
	v_and_b32_e32 v43, 0xff, v5
	v_mul_u32_u24_e32 v5, 0xf0f1, v7
	v_mul_u32_u24_e32 v7, 0xf0f1, v8
	;; [unrolled: 1-line block ×3, first 2 shown]
	v_lshlrev_b32_e32 v8, 4, v44
	v_lshlrev_b32_e32 v11, 4, v43
	v_lshrrev_b32_e32 v18, 20, v5
	v_lshrrev_b32_e32 v19, 20, v7
	;; [unrolled: 1-line block ×3, first 2 shown]
	v_mul_lo_u16 v4, v20, 17
	s_waitcnt lgkmcnt(0)
	v_mul_lo_u16 v5, v18, 17
	v_mul_lo_u16 v7, v19, 17
	s_barrier
	v_sub_nc_u16 v25, v2, v4
	buffer_gl0_inv
	v_sub_nc_u16 v23, v0, v5
	v_mul_lo_u16 v0, v21, 17
	v_sub_nc_u16 v24, v1, v7
	v_mul_lo_u16 v1, v22, 17
	s_clause 0x1
	global_load_b128 v[32:35], v8, s[0:1]
	global_load_b128 v[28:31], v11, s[0:1]
	v_and_b32_e32 v2, 0xffff, v23
	v_sub_nc_u16 v26, v3, v0
	v_and_b32_e32 v0, 0xffff, v24
	v_sub_nc_u16 v27, v6, v1
	v_and_b32_e32 v1, 0xffff, v25
	v_lshlrev_b32_e32 v2, 4, v2
	v_and_b32_e32 v3, 0xffff, v26
	v_lshlrev_b32_e32 v0, 4, v0
	;; [unrolled: 2-line block ×3, first 2 shown]
	global_load_b128 v[95:98], v2, s[0:1]
	s_mov_b32 s16, 0x37e14327
	global_load_b128 v[99:102], v0, s[0:1]
	v_lshlrev_b32_e32 v2, 4, v3
	v_lshlrev_b32_e32 v0, 4, v4
	s_clause 0x2
	global_load_b128 v[103:106], v1, s[0:1]
	global_load_b128 v[91:94], v2, s[0:1]
	;; [unrolled: 1-line block ×3, first 2 shown]
	v_and_b32_e32 v0, 0xffff, v242
	s_mov_b32 s2, 0x36b3c0b5
	s_mov_b32 s18, 0xe976ee23
	;; [unrolled: 1-line block ×4, first 2 shown]
	v_lshlrev_b32_e32 v217, 4, v0
	ds_load_b128 v[45:48], v217 offset:13328
	ds_load_b128 v[49:52], v217 offset:15232
	;; [unrolled: 1-line block ×8, first 2 shown]
	s_mov_b32 s3, 0x3fac98ee
	s_mov_b32 s19, 0xbfe11646
	;; [unrolled: 1-line block ×15, first 2 shown]
	s_waitcnt vmcnt(6) lgkmcnt(7)
	v_mul_f64 v[0:1], v[47:48], v[34:35]
	v_mul_f64 v[2:3], v[45:46], v[34:35]
	s_waitcnt vmcnt(5) lgkmcnt(6)
	v_mul_f64 v[4:5], v[51:52], v[30:31]
	v_mul_f64 v[6:7], v[49:50], v[30:31]
	s_clause 0x1
	scratch_store_b128 off, v[32:35], off offset:16
	scratch_store_b128 off, v[28:31], off
	s_waitcnt vmcnt(4) lgkmcnt(5)
	v_mul_f64 v[8:9], v[55:56], v[97:98]
	v_mul_f64 v[10:11], v[53:54], v[97:98]
	s_waitcnt vmcnt(3) lgkmcnt(4)
	v_mul_f64 v[12:13], v[59:60], v[101:102]
	v_mul_f64 v[14:15], v[57:58], v[101:102]
	s_clause 0x1
	scratch_store_b128 off, v[95:98], off offset:64
	scratch_store_b128 off, v[99:102], off offset:80
	s_waitcnt vmcnt(2) lgkmcnt(3)
	v_mul_f64 v[77:78], v[63:64], v[105:106]
	v_mul_f64 v[79:80], v[61:62], v[105:106]
	s_waitcnt vmcnt(1) lgkmcnt(2)
	v_mul_f64 v[81:82], v[67:68], v[93:94]
	v_mul_f64 v[83:84], v[65:66], v[93:94]
	s_waitcnt vmcnt(0) lgkmcnt(1)
	v_mul_f64 v[85:86], v[71:72], v[38:39]
	v_mul_f64 v[87:88], v[69:70], v[38:39]
	s_clause 0x2
	scratch_store_b128 off, v[103:106], off offset:96
	scratch_store_b128 off, v[91:94], off offset:48
	;; [unrolled: 1-line block ×3, first 2 shown]
	v_fma_f64 v[0:1], v[45:46], v[32:33], -v[0:1]
	v_fma_f64 v[2:3], v[47:48], v[32:33], v[2:3]
	v_fma_f64 v[4:5], v[49:50], v[28:29], -v[4:5]
	v_fma_f64 v[6:7], v[51:52], v[28:29], v[6:7]
	;; [unrolled: 2-line block ×7, first 2 shown]
	ds_load_b128 v[45:48], v217
	ds_load_b128 v[49:52], v217 offset:1904
	ds_load_b128 v[53:56], v217 offset:3808
	;; [unrolled: 1-line block ×5, first 2 shown]
	v_lshrrev_b16 v91, 13, v41
	s_waitcnt lgkmcnt(0)
	s_waitcnt_vscnt null, 0x0
	s_barrier
	buffer_gl0_inv
	v_add_f64 v[69:70], v[45:46], -v[0:1]
	v_add_f64 v[71:72], v[47:48], -v[2:3]
	;; [unrolled: 1-line block ×4, first 2 shown]
	v_and_b32_e32 v2, 0xffff, v42
	v_mul_lo_u16 v3, v91, 34
	v_mul_lo_u16 v0, v17, 34
	v_mad_u16 v4, v18, 34, v23
	v_mad_u16 v5, v19, 34, v24
	v_mul_u32_u24_e32 v2, 34, v2
	v_sub_nc_u16 v3, v40, v3
	v_add_f64 v[81:82], v[53:54], -v[8:9]
	v_add_f64 v[83:84], v[55:56], -v[10:11]
	;; [unrolled: 1-line block ×4, first 2 shown]
	v_mad_u16 v6, v20, 34, v25
	v_mad_u16 v7, v21, 34, v26
	v_add_f64 v[96:97], v[61:62], -v[89:90]
	v_add_f64 v[98:99], v[63:64], -v[98:99]
	;; [unrolled: 1-line block ×6, first 2 shown]
	v_lshrrev_b16 v90, 13, v16
	v_mad_u16 v8, v22, 34, v27
	v_and_b32_e32 v0, 0xfe, v0
	v_and_b32_e32 v89, 0xff, v3
	v_add_lshl_u32 v9, v2, v43, 4
	v_mul_lo_u16 v1, v90, 34
	v_and_b32_e32 v2, 0xffff, v4
	v_and_b32_e32 v3, 0xffff, v5
	;; [unrolled: 1-line block ×4, first 2 shown]
	v_sub_nc_u16 v1, v242, v1
	v_and_b32_e32 v6, 0xffff, v8
	v_add_lshl_u32 v10, v0, v44, 4
	v_lshlrev_b32_e32 v8, 4, v2
	v_lshlrev_b32_e32 v7, 4, v3
	v_fma_f64 v[45:46], v[45:46], 2.0, -v[69:70]
	v_fma_f64 v[47:48], v[47:48], 2.0, -v[71:72]
	;; [unrolled: 1-line block ×4, first 2 shown]
	v_and_b32_e32 v88, 0xff, v1
	v_lshlrev_b32_e32 v3, 4, v4
	v_lshlrev_b32_e32 v2, 4, v5
	;; [unrolled: 1-line block ×3, first 2 shown]
	scratch_store_b32 off, v10, off offset:132 ; 4-byte Folded Spill
	v_mad_u64_u32 v[0:1], null, 0x60, v88, s[0:1]
	v_fma_f64 v[53:54], v[53:54], 2.0, -v[81:82]
	v_fma_f64 v[55:56], v[55:56], 2.0, -v[83:84]
	v_fma_f64 v[57:58], v[57:58], 2.0, -v[92:93]
	v_fma_f64 v[59:60], v[59:60], 2.0, -v[94:95]
	v_fma_f64 v[61:62], v[61:62], 2.0, -v[96:97]
	v_fma_f64 v[63:64], v[63:64], 2.0, -v[98:99]
	v_fma_f64 v[65:66], v[65:66], 2.0, -v[100:101]
	v_fma_f64 v[67:68], v[67:68], 2.0, -v[102:103]
	v_fma_f64 v[73:74], v[73:74], 2.0, -v[104:105]
	v_fma_f64 v[75:76], v[75:76], 2.0, -v[106:107]
	ds_store_b128 v10, v[45:48]
	ds_store_b128 v10, v[69:72] offset:272
	ds_store_b128 v9, v[49:52]
	scratch_store_b32 off, v9, off offset:128 ; 4-byte Folded Spill
	ds_store_b128 v9, v[77:80] offset:272
	ds_store_b128 v8, v[53:56]
	scratch_store_b32 off, v8, off offset:124 ; 4-byte Folded Spill
	;; [unrolled: 3-line block ×5, first 2 shown]
	ds_store_b128 v2, v[100:103] offset:272
	ds_store_b128 v240, v[73:76]
	ds_store_b128 v240, v[104:107] offset:272
	s_waitcnt lgkmcnt(0)
	s_waitcnt_vscnt null, 0x0
	s_barrier
	buffer_gl0_inv
	s_clause 0x1
	global_load_b128 v[52:55], v[0:1], off offset:272
	global_load_b128 v[44:47], v[0:1], off offset:288
	v_mad_u64_u32 v[2:3], null, 0x60, v89, s[0:1]
	s_clause 0x9
	global_load_b128 v[48:51], v[0:1], off offset:352
	global_load_b128 v[40:43], v[0:1], off offset:336
	;; [unrolled: 1-line block ×10, first 2 shown]
	ds_load_b128 v[92:95], v217 offset:3808
	ds_load_b128 v[96:99], v217 offset:7616
	;; [unrolled: 1-line block ×12, first 2 shown]
	s_waitcnt vmcnt(9) lgkmcnt(9)
	v_mul_f64 v[8:9], v[102:103], v[50:51]
	v_mul_f64 v[0:1], v[94:95], v[54:55]
	;; [unrolled: 1-line block ×6, first 2 shown]
	s_waitcnt vmcnt(8) lgkmcnt(8)
	v_mul_f64 v[12:13], v[106:107], v[42:43]
	v_mul_f64 v[14:15], v[104:105], v[42:43]
	s_waitcnt vmcnt(7) lgkmcnt(7)
	v_mul_f64 v[140:141], v[110:111], v[62:63]
	v_mul_f64 v[142:143], v[108:109], v[62:63]
	;; [unrolled: 3-line block ×6, first 2 shown]
	s_waitcnt vmcnt(2)
	v_mul_f64 v[160:161], v[126:127], v[78:79]
	v_mul_f64 v[162:163], v[124:125], v[78:79]
	v_fma_f64 v[8:9], v[100:101], v[48:49], -v[8:9]
	v_fma_f64 v[0:1], v[92:93], v[52:53], -v[0:1]
	v_fma_f64 v[2:3], v[94:95], v[52:53], v[2:3]
	v_fma_f64 v[4:5], v[96:97], v[44:45], -v[4:5]
	v_fma_f64 v[6:7], v[98:99], v[44:45], v[6:7]
	v_fma_f64 v[10:11], v[102:103], v[48:49], v[10:11]
	v_fma_f64 v[12:13], v[104:105], v[40:41], -v[12:13]
	v_fma_f64 v[14:15], v[106:107], v[40:41], v[14:15]
	s_waitcnt vmcnt(1) lgkmcnt(1)
	v_mul_f64 v[92:93], v[134:135], v[70:71]
	v_mul_f64 v[94:95], v[132:133], v[70:71]
	s_waitcnt vmcnt(0) lgkmcnt(0)
	v_mul_f64 v[96:97], v[138:139], v[66:67]
	v_mul_f64 v[98:99], v[136:137], v[66:67]
	v_fma_f64 v[100:101], v[108:109], v[60:61], -v[140:141]
	v_fma_f64 v[102:103], v[110:111], v[60:61], v[142:143]
	v_fma_f64 v[104:105], v[112:113], v[56:57], -v[144:145]
	v_fma_f64 v[106:107], v[114:115], v[56:57], v[146:147]
	v_fma_f64 v[108:109], v[116:117], v[72:73], -v[148:149]
	v_fma_f64 v[110:111], v[118:119], v[72:73], v[150:151]
	v_fma_f64 v[112:113], v[120:121], v[84:85], -v[152:153]
	v_fma_f64 v[114:115], v[122:123], v[84:85], v[154:155]
	v_fma_f64 v[116:117], v[128:129], v[80:81], -v[156:157]
	v_fma_f64 v[118:119], v[130:131], v[80:81], v[158:159]
	v_fma_f64 v[120:121], v[124:125], v[76:77], -v[160:161]
	v_fma_f64 v[122:123], v[126:127], v[76:77], v[162:163]
	v_add_f64 v[124:125], v[0:1], v[8:9]
	v_add_f64 v[0:1], v[0:1], -v[8:9]
	v_add_f64 v[126:127], v[2:3], v[10:11]
	v_add_f64 v[128:129], v[4:5], v[12:13]
	;; [unrolled: 1-line block ×3, first 2 shown]
	v_fma_f64 v[92:93], v[132:133], v[68:69], -v[92:93]
	v_fma_f64 v[94:95], v[134:135], v[68:69], v[94:95]
	v_fma_f64 v[96:97], v[136:137], v[64:65], -v[96:97]
	v_fma_f64 v[98:99], v[138:139], v[64:65], v[98:99]
	v_add_f64 v[4:5], v[4:5], -v[12:13]
	v_add_f64 v[6:7], v[6:7], -v[14:15]
	;; [unrolled: 1-line block ×3, first 2 shown]
	v_add_f64 v[132:133], v[100:101], v[108:109]
	v_add_f64 v[134:135], v[102:103], v[110:111]
	;; [unrolled: 1-line block ×4, first 2 shown]
	v_add_f64 v[104:105], v[104:105], -v[112:113]
	v_add_f64 v[106:107], v[106:107], -v[114:115]
	v_add_f64 v[140:141], v[116:117], v[120:121]
	v_add_f64 v[142:143], v[118:119], v[122:123]
	v_add_f64 v[12:13], v[120:121], -v[116:117]
	v_add_f64 v[14:15], v[122:123], -v[118:119]
	;; [unrolled: 1-line block ×4, first 2 shown]
	v_add_f64 v[8:9], v[128:129], v[124:125]
	v_add_f64 v[10:11], v[130:131], v[126:127]
	;; [unrolled: 1-line block ×4, first 2 shown]
	v_add_f64 v[116:117], v[96:97], -v[92:93]
	v_add_f64 v[118:119], v[98:99], -v[94:95]
	;; [unrolled: 1-line block ×4, first 2 shown]
	v_add_f64 v[92:93], v[136:137], v[132:133]
	v_add_f64 v[94:95], v[138:139], v[134:135]
	v_add_f64 v[108:109], v[124:125], -v[140:141]
	v_add_f64 v[110:111], v[126:127], -v[142:143]
	;; [unrolled: 1-line block ×10, first 2 shown]
	v_add_f64 v[4:5], v[12:13], v[4:5]
	v_add_f64 v[6:7], v[14:15], v[6:7]
	v_add_f64 v[12:13], v[0:1], -v[12:13]
	v_add_f64 v[14:15], v[2:3], -v[14:15]
	v_add_f64 v[8:9], v[140:141], v[8:9]
	v_add_f64 v[10:11], v[142:143], v[10:11]
	v_add_f64 v[140:141], v[132:133], -v[112:113]
	v_add_f64 v[142:143], v[134:135], -v[114:115]
	v_add_f64 v[152:153], v[116:117], -v[104:105]
	v_add_f64 v[154:155], v[118:119], -v[106:107]
	v_add_f64 v[104:105], v[116:117], v[104:105]
	v_add_f64 v[106:107], v[118:119], v[106:107]
	v_mul_f64 v[164:165], v[148:149], s[8:9]
	v_mul_f64 v[166:167], v[150:151], s[8:9]
	v_add_f64 v[160:161], v[112:113], v[92:93]
	v_add_f64 v[162:163], v[114:115], v[94:95]
	v_add_f64 v[112:113], v[112:113], -v[136:137]
	v_add_f64 v[114:115], v[114:115], -v[138:139]
	ds_load_b128 v[92:95], v217
	ds_load_b128 v[96:99], v217 offset:1904
	v_mul_f64 v[108:109], v[108:109], s[16:17]
	v_mul_f64 v[110:111], v[110:111], s[16:17]
	v_mul_f64 v[128:129], v[120:121], s[2:3]
	v_mul_f64 v[130:131], v[122:123], s[2:3]
	v_mul_f64 v[144:145], v[144:145], s[18:19]
	v_mul_f64 v[146:147], v[146:147], s[18:19]
	v_add_f64 v[116:117], v[100:101], -v[116:117]
	v_add_f64 v[118:119], v[102:103], -v[118:119]
	v_mul_f64 v[168:169], v[156:157], s[8:9]
	v_mul_f64 v[170:171], v[158:159], s[8:9]
	v_add_f64 v[132:133], v[136:137], -v[132:133]
	v_add_f64 v[134:135], v[138:139], -v[134:135]
	v_add_f64 v[0:1], v[4:5], v[0:1]
	v_add_f64 v[2:3], v[6:7], v[2:3]
	s_waitcnt lgkmcnt(0)
	s_barrier
	buffer_gl0_inv
	v_add_f64 v[92:93], v[92:93], v[8:9]
	v_add_f64 v[94:95], v[94:95], v[10:11]
	v_mul_f64 v[140:141], v[140:141], s[16:17]
	v_mul_f64 v[142:143], v[142:143], s[16:17]
	;; [unrolled: 1-line block ×4, first 2 shown]
	v_add_f64 v[4:5], v[104:105], v[100:101]
	v_add_f64 v[6:7], v[106:107], v[102:103]
	;; [unrolled: 1-line block ×4, first 2 shown]
	v_mul_f64 v[136:137], v[112:113], s[2:3]
	v_mul_f64 v[138:139], v[114:115], s[2:3]
	v_fma_f64 v[100:101], v[120:121], s[2:3], v[108:109]
	v_fma_f64 v[102:103], v[122:123], s[2:3], v[110:111]
	v_fma_f64 v[104:105], v[124:125], s[20:21], -v[128:129]
	v_fma_f64 v[106:107], v[126:127], s[20:21], -v[130:131]
	v_fma_f64 v[120:121], v[12:13], s[26:27], v[144:145]
	v_fma_f64 v[122:123], v[14:15], s[26:27], v[146:147]
	v_fma_f64 v[128:129], v[148:149], s[8:9], -v[144:145]
	v_fma_f64 v[130:131], v[150:151], s[8:9], -v[146:147]
	v_fma_f64 v[12:13], v[12:13], s[24:25], -v[164:165]
	v_fma_f64 v[14:15], v[14:15], s[24:25], -v[166:167]
	v_fma_f64 v[108:109], v[124:125], s[22:23], -v[108:109]
	v_fma_f64 v[110:111], v[126:127], s[22:23], -v[110:111]
	v_fma_f64 v[8:9], v[8:9], s[10:11], v[92:93]
	v_fma_f64 v[10:11], v[10:11], s[10:11], v[94:95]
	;; [unrolled: 1-line block ×6, first 2 shown]
	v_fma_f64 v[144:145], v[156:157], s[8:9], -v[152:153]
	v_fma_f64 v[146:147], v[158:159], s[8:9], -v[154:155]
	;; [unrolled: 1-line block ×4, first 2 shown]
	v_fma_f64 v[148:149], v[160:161], s[10:11], v[96:97]
	v_fma_f64 v[150:151], v[162:163], s[10:11], v[98:99]
	v_fma_f64 v[140:141], v[132:133], s[22:23], -v[140:141]
	v_fma_f64 v[142:143], v[134:135], s[22:23], -v[142:143]
	;; [unrolled: 1-line block ×4, first 2 shown]
	v_fma_f64 v[136:137], v[0:1], s[28:29], v[120:121]
	v_fma_f64 v[120:121], v[2:3], s[28:29], v[122:123]
	;; [unrolled: 1-line block ×6, first 2 shown]
	v_add_f64 v[12:13], v[100:101], v[8:9]
	v_add_f64 v[14:15], v[102:103], v[10:11]
	;; [unrolled: 1-line block ×6, first 2 shown]
	v_fma_f64 v[152:153], v[4:5], s[28:29], v[124:125]
	v_fma_f64 v[154:155], v[6:7], s[28:29], v[126:127]
	;; [unrolled: 1-line block ×6, first 2 shown]
	v_add_f64 v[156:157], v[112:113], v[148:149]
	v_add_f64 v[158:159], v[114:115], v[150:151]
	;; [unrolled: 1-line block ×7, first 2 shown]
	v_add_f64 v[102:103], v[14:15], -v[136:137]
	v_add_f64 v[104:105], v[2:3], v[130:131]
	v_add_f64 v[106:107], v[138:139], -v[0:1]
	v_add_f64 v[108:109], v[8:9], -v[128:129]
	v_add_f64 v[110:111], v[122:123], v[10:11]
	v_add_f64 v[112:113], v[128:129], v[8:9]
	v_add_f64 v[114:115], v[10:11], -v[122:123]
	v_add_f64 v[116:117], v[130:131], -v[2:3]
	v_add_f64 v[118:119], v[0:1], v[138:139]
	v_add_f64 v[120:121], v[12:13], -v[120:121]
	v_add_f64 v[122:123], v[136:137], v[14:15]
	v_add_f64 v[124:125], v[154:155], v[156:157]
	v_add_f64 v[126:127], v[158:159], -v[152:153]
	v_add_f64 v[128:129], v[6:7], v[140:141]
	v_add_f64 v[130:131], v[142:143], -v[4:5]
	v_add_f64 v[132:133], v[148:149], -v[146:147]
	v_add_f64 v[134:135], v[144:145], v[150:151]
	v_add_f64 v[136:137], v[146:147], v[148:149]
	v_add_f64 v[138:139], v[150:151], -v[144:145]
	v_add_f64 v[140:141], v[140:141], -v[6:7]
	v_add_f64 v[142:143], v[4:5], v[142:143]
	v_add_f64 v[144:145], v[156:157], -v[154:155]
	v_add_f64 v[146:147], v[152:153], v[158:159]
	v_and_b32_e32 v0, 0xffff, v90
	v_and_b32_e32 v1, 0xffff, v91
	s_delay_alu instid0(VALU_DEP_2) | instskip(NEXT) | instid1(VALU_DEP_2)
	v_mul_u32_u24_e32 v2, 0xee, v0
	v_mul_u32_u24_e32 v3, 0xee, v1
	v_mad_u64_u32 v[0:1], null, 0x60, v242, s[0:1]
	s_delay_alu instid0(VALU_DEP_3) | instskip(NEXT) | instid1(VALU_DEP_3)
	v_add_lshl_u32 v227, v2, v88, 4
	v_add_lshl_u32 v196, v3, v89, 4
	ds_store_b128 v227, v[92:95]
	ds_store_b128 v227, v[100:103] offset:544
	ds_store_b128 v227, v[104:107] offset:1088
	;; [unrolled: 1-line block ×6, first 2 shown]
	ds_store_b128 v196, v[96:99]
	ds_store_b128 v196, v[124:127] offset:544
	ds_store_b128 v196, v[128:131] offset:1088
	;; [unrolled: 1-line block ×6, first 2 shown]
	v_add_co_u32 v2, s0, 0x2ca0, v0
	s_waitcnt lgkmcnt(0)
	s_barrier
	buffer_gl0_inv
	s_clause 0x2
	global_load_b128 v[88:91], v[0:1], off offset:3552
	global_load_b128 v[92:95], v[0:1], off offset:3536
	;; [unrolled: 1-line block ×3, first 2 shown]
	v_add_co_ci_u32_e64 v3, s0, 0, v1, s0
	s_clause 0x8
	global_load_b128 v[100:103], v[0:1], off offset:3600
	global_load_b128 v[108:111], v[2:3], off offset:3536
	;; [unrolled: 1-line block ×9, first 2 shown]
	ds_load_b128 v[136:139], v217 offset:3808
	ds_load_b128 v[140:143], v217 offset:7616
	;; [unrolled: 1-line block ×12, first 2 shown]
	s_waitcnt vmcnt(8) lgkmcnt(8)
	v_mul_f64 v[12:13], v[150:151], v[102:103]
	v_mul_f64 v[4:5], v[142:143], v[90:91]
	;; [unrolled: 1-line block ×8, first 2 shown]
	s_waitcnt vmcnt(7) lgkmcnt(7)
	v_mul_f64 v[184:185], v[154:155], v[110:111]
	v_mul_f64 v[186:187], v[152:153], v[110:111]
	s_waitcnt vmcnt(6) lgkmcnt(6)
	v_mul_f64 v[188:189], v[158:159], v[106:107]
	v_mul_f64 v[190:191], v[156:157], v[106:107]
	;; [unrolled: 3-line block ×5, first 2 shown]
	s_waitcnt vmcnt(2)
	v_mul_f64 v[205:206], v[170:171], v[126:127]
	v_mul_f64 v[207:208], v[168:169], v[126:127]
	v_fma_f64 v[12:13], v[148:149], v[100:101], -v[12:13]
	v_fma_f64 v[4:5], v[140:141], v[88:89], -v[4:5]
	;; [unrolled: 1-line block ×3, first 2 shown]
	v_fma_f64 v[2:3], v[138:139], v[92:93], v[2:3]
	v_fma_f64 v[6:7], v[142:143], v[88:89], v[6:7]
	v_fma_f64 v[8:9], v[144:145], v[96:97], -v[8:9]
	v_fma_f64 v[10:11], v[146:147], v[96:97], v[10:11]
	v_fma_f64 v[14:15], v[150:151], v[100:101], v[14:15]
	s_waitcnt vmcnt(1) lgkmcnt(1)
	v_mul_f64 v[136:137], v[178:179], v[118:119]
	v_mul_f64 v[138:139], v[176:177], v[118:119]
	s_waitcnt vmcnt(0) lgkmcnt(0)
	v_mul_f64 v[140:141], v[182:183], v[114:115]
	v_mul_f64 v[142:143], v[180:181], v[114:115]
	v_fma_f64 v[144:145], v[152:153], v[108:109], -v[184:185]
	v_fma_f64 v[146:147], v[154:155], v[108:109], v[186:187]
	v_fma_f64 v[148:149], v[156:157], v[104:105], -v[188:189]
	v_fma_f64 v[150:151], v[158:159], v[104:105], v[190:191]
	;; [unrolled: 2-line block ×6, first 2 shown]
	v_add_f64 v[172:173], v[4:5], v[12:13]
	v_add_f64 v[4:5], v[4:5], -v[12:13]
	v_add_f64 v[168:169], v[0:1], v[8:9]
	v_add_f64 v[170:171], v[2:3], v[10:11]
	;; [unrolled: 1-line block ×3, first 2 shown]
	v_fma_f64 v[136:137], v[176:177], v[116:117], -v[136:137]
	v_fma_f64 v[138:139], v[178:179], v[116:117], v[138:139]
	v_fma_f64 v[140:141], v[180:181], v[112:113], -v[140:141]
	v_fma_f64 v[142:143], v[182:183], v[112:113], v[142:143]
	v_add_f64 v[6:7], v[6:7], -v[14:15]
	v_add_f64 v[0:1], v[0:1], -v[8:9]
	;; [unrolled: 1-line block ×3, first 2 shown]
	v_add_f64 v[176:177], v[144:145], v[152:153]
	v_add_f64 v[178:179], v[146:147], v[154:155]
	v_add_f64 v[180:181], v[148:149], v[156:157]
	v_add_f64 v[182:183], v[150:151], v[158:159]
	v_add_f64 v[148:149], v[148:149], -v[156:157]
	v_add_f64 v[150:151], v[150:151], -v[158:159]
	v_add_f64 v[184:185], v[160:161], v[164:165]
	v_add_f64 v[186:187], v[162:163], v[166:167]
	v_add_f64 v[12:13], v[164:165], -v[160:161]
	v_add_f64 v[14:15], v[166:167], -v[162:163]
	;; [unrolled: 1-line block ×4, first 2 shown]
	v_add_f64 v[8:9], v[172:173], v[168:169]
	v_add_f64 v[10:11], v[174:175], v[170:171]
	;; [unrolled: 1-line block ×4, first 2 shown]
	v_add_f64 v[160:161], v[140:141], -v[136:137]
	v_add_f64 v[162:163], v[142:143], -v[138:139]
	;; [unrolled: 1-line block ×4, first 2 shown]
	v_add_f64 v[136:137], v[180:181], v[176:177]
	v_add_f64 v[138:139], v[182:183], v[178:179]
	v_add_f64 v[152:153], v[168:169], -v[184:185]
	v_add_f64 v[154:155], v[170:171], -v[186:187]
	;; [unrolled: 1-line block ×10, first 2 shown]
	v_add_f64 v[4:5], v[12:13], v[4:5]
	v_add_f64 v[6:7], v[14:15], v[6:7]
	v_add_f64 v[12:13], v[0:1], -v[12:13]
	v_add_f64 v[14:15], v[2:3], -v[14:15]
	v_add_f64 v[8:9], v[184:185], v[8:9]
	v_add_f64 v[10:11], v[186:187], v[10:11]
	v_add_f64 v[184:185], v[176:177], -v[156:157]
	v_add_f64 v[186:187], v[178:179], -v[158:159]
	v_add_f64 v[197:198], v[160:161], -v[148:149]
	v_add_f64 v[199:200], v[162:163], -v[150:151]
	v_add_f64 v[148:149], v[160:161], v[148:149]
	v_add_f64 v[150:151], v[162:163], v[150:151]
	v_mul_f64 v[209:210], v[192:193], s[8:9]
	v_mul_f64 v[211:212], v[194:195], s[8:9]
	v_add_f64 v[205:206], v[156:157], v[136:137]
	v_add_f64 v[207:208], v[158:159], v[138:139]
	v_add_f64 v[156:157], v[156:157], -v[180:181]
	v_add_f64 v[158:159], v[158:159], -v[182:183]
	ds_load_b128 v[136:139], v217
	ds_load_b128 v[140:143], v217 offset:1904
	v_mul_f64 v[152:153], v[152:153], s[16:17]
	v_mul_f64 v[154:155], v[154:155], s[16:17]
	v_mul_f64 v[172:173], v[164:165], s[2:3]
	v_mul_f64 v[174:175], v[166:167], s[2:3]
	v_mul_f64 v[188:189], v[188:189], s[18:19]
	v_mul_f64 v[190:191], v[190:191], s[18:19]
	v_add_f64 v[213:214], v[144:145], -v[160:161]
	v_add_f64 v[215:216], v[146:147], -v[162:163]
	v_mul_f64 v[218:219], v[201:202], s[8:9]
	v_mul_f64 v[220:221], v[203:204], s[8:9]
	v_add_f64 v[0:1], v[4:5], v[0:1]
	v_add_f64 v[2:3], v[6:7], v[2:3]
	s_waitcnt lgkmcnt(1)
	v_add_f64 v[136:137], v[136:137], v[8:9]
	v_add_f64 v[138:139], v[138:139], v[10:11]
	v_mul_f64 v[184:185], v[184:185], s[16:17]
	v_mul_f64 v[186:187], v[186:187], s[16:17]
	;; [unrolled: 1-line block ×4, first 2 shown]
	v_add_f64 v[4:5], v[148:149], v[144:145]
	v_add_f64 v[6:7], v[150:151], v[146:147]
	s_waitcnt lgkmcnt(0)
	v_add_f64 v[160:161], v[140:141], v[205:206]
	v_add_f64 v[162:163], v[142:143], v[207:208]
	v_add_f64 v[140:141], v[180:181], -v[176:177]
	v_add_f64 v[142:143], v[182:183], -v[178:179]
	v_mul_f64 v[176:177], v[156:157], s[2:3]
	v_mul_f64 v[178:179], v[158:159], s[2:3]
	v_fma_f64 v[144:145], v[164:165], s[2:3], v[152:153]
	v_fma_f64 v[146:147], v[166:167], s[2:3], v[154:155]
	v_fma_f64 v[148:149], v[168:169], s[20:21], -v[172:173]
	v_fma_f64 v[150:151], v[170:171], s[20:21], -v[174:175]
	v_fma_f64 v[164:165], v[12:13], s[26:27], v[188:189]
	v_fma_f64 v[166:167], v[14:15], s[26:27], v[190:191]
	v_fma_f64 v[172:173], v[192:193], s[8:9], -v[188:189]
	v_fma_f64 v[174:175], v[194:195], s[8:9], -v[190:191]
	v_fma_f64 v[12:13], v[12:13], s[24:25], -v[209:210]
	v_fma_f64 v[14:15], v[14:15], s[24:25], -v[211:212]
	v_fma_f64 v[152:153], v[168:169], s[22:23], -v[152:153]
	v_fma_f64 v[154:155], v[170:171], s[22:23], -v[154:155]
	v_fma_f64 v[188:189], v[213:214], s[24:25], -v[218:219]
	v_fma_f64 v[190:191], v[215:216], s[24:25], -v[220:221]
	v_lshlrev_b32_e32 v218, 4, v242
	v_fma_f64 v[8:9], v[8:9], s[10:11], v[136:137]
	v_fma_f64 v[10:11], v[10:11], s[10:11], v[138:139]
	;; [unrolled: 1-line block ×6, first 2 shown]
	v_fma_f64 v[180:181], v[201:202], s[8:9], -v[197:198]
	v_fma_f64 v[182:183], v[203:204], s[8:9], -v[199:200]
	v_fma_f64 v[192:193], v[205:206], s[10:11], v[160:161]
	v_fma_f64 v[194:195], v[207:208], s[10:11], v[162:163]
	v_fma_f64 v[184:185], v[140:141], s[22:23], -v[184:185]
	v_fma_f64 v[186:187], v[142:143], s[22:23], -v[186:187]
	;; [unrolled: 1-line block ×4, first 2 shown]
	v_fma_f64 v[164:165], v[0:1], s[28:29], v[164:165]
	v_fma_f64 v[166:167], v[2:3], s[28:29], v[166:167]
	v_fma_f64 v[172:173], v[0:1], s[28:29], v[172:173]
	v_fma_f64 v[174:175], v[2:3], s[28:29], v[174:175]
	v_fma_f64 v[0:1], v[0:1], s[28:29], v[12:13]
	v_fma_f64 v[2:3], v[2:3], s[28:29], v[14:15]
	v_add_f64 v[12:13], v[144:145], v[8:9]
	v_add_f64 v[176:177], v[152:153], v[8:9]
	;; [unrolled: 1-line block ×6, first 2 shown]
	v_fma_f64 v[197:198], v[4:5], s[28:29], v[168:169]
	v_fma_f64 v[199:200], v[6:7], s[28:29], v[170:171]
	;; [unrolled: 1-line block ×6, first 2 shown]
	v_add_f64 v[205:206], v[156:157], v[192:193]
	v_add_f64 v[207:208], v[158:159], v[194:195]
	;; [unrolled: 1-line block ×8, first 2 shown]
	v_add_f64 v[142:143], v[14:15], -v[164:165]
	v_add_f64 v[146:147], v[178:179], -v[0:1]
	;; [unrolled: 1-line block ×3, first 2 shown]
	v_add_f64 v[150:151], v[172:173], v[10:11]
	v_add_f64 v[152:153], v[174:175], v[8:9]
	v_add_f64 v[154:155], v[10:11], -v[172:173]
	v_add_f64 v[156:157], v[176:177], -v[2:3]
	v_add_f64 v[158:159], v[0:1], v[178:179]
	v_add_f64 v[168:169], v[12:13], -v[166:167]
	v_add_f64 v[170:171], v[164:165], v[14:15]
	v_add_f64 v[188:189], v[199:200], v[205:206]
	v_add_f64 v[190:191], v[207:208], -v[197:198]
	v_add_f64 v[184:185], v[6:7], v[209:210]
	v_add_f64 v[186:187], v[211:212], -v[4:5]
	v_add_f64 v[180:181], v[192:193], -v[203:204]
	v_add_f64 v[182:183], v[201:202], v[194:195]
	v_add_f64 v[176:177], v[203:204], v[192:193]
	v_add_f64 v[178:179], v[194:195], -v[201:202]
	v_add_f64 v[172:173], v[209:210], -v[6:7]
	v_add_f64 v[174:175], v[4:5], v[211:212]
	v_add_f64 v[164:165], v[205:206], -v[199:200]
	v_add_f64 v[166:167], v[197:198], v[207:208]
	ds_store_b128 v217, v[136:139]
	ds_store_b128 v217, v[160:163] offset:1904
	ds_store_b128 v217, v[140:143] offset:3808
	;; [unrolled: 1-line block ×13, first 2 shown]
	s_waitcnt lgkmcnt(0)
	s_barrier
	buffer_gl0_inv
	s_and_saveexec_b32 s1, vcc_lo
	s_cbranch_execz .LBB0_9
; %bb.8:
	v_add_co_u32 v197, s0, s12, v255
	s_delay_alu instid0(VALU_DEP_1) | instskip(SKIP_1) | instid1(VALU_DEP_3)
	v_add_co_ci_u32_e64 v198, null, s13, 0, s0
	v_dual_mov_b32 v16, v243 :: v_dual_mov_b32 v17, v244
	v_add_co_u32 v0, s0, 0x6000, v197
	s_delay_alu instid0(VALU_DEP_1) | instskip(SKIP_4) | instid1(VALU_DEP_1)
	v_add_co_ci_u32_e64 v1, s0, 0, v198, s0
	v_dual_mov_b32 v18, v245 :: v_dual_mov_b32 v19, v246
	v_dual_mov_b32 v20, v247 :: v_dual_mov_b32 v21, v248
	global_load_b128 v[192:195], v[0:1], off offset:2080
	v_add_co_u32 v0, s0, 0x6820, v197
	v_add_co_ci_u32_e64 v1, s0, 0, v198, s0
	s_clause 0x1
	global_load_b128 v[199:202], v[0:1], off offset:1568
	global_load_b128 v[203:206], v[0:1], off offset:3136
	v_add_co_u32 v0, s0, 0x7000, v197
	s_delay_alu instid0(VALU_DEP_1) | instskip(SKIP_4) | instid1(VALU_DEP_1)
	v_add_co_ci_u32_e64 v1, s0, 0, v198, s0
	ds_load_b128 v[211:214], v217
	v_dual_mov_b32 v22, v249 :: v_dual_mov_b32 v23, v250
	global_load_b128 v[207:210], v[0:1], off offset:2688
	v_add_co_u32 v0, s0, 0x8000, v197
	v_add_co_ci_u32_e64 v1, s0, 0, v198, s0
	v_dual_mov_b32 v24, v251 :: v_dual_mov_b32 v25, v252
	v_dual_mov_b32 v26, v253 :: v_dual_mov_b32 v27, v254
	global_load_b128 v[228:231], v[0:1], off offset:160
	s_waitcnt vmcnt(4) lgkmcnt(0)
	v_mul_f64 v[2:3], v[213:214], v[194:195]
	v_mul_f64 v[4:5], v[211:212], v[194:195]
	s_delay_alu instid0(VALU_DEP_2) | instskip(NEXT) | instid1(VALU_DEP_2)
	v_fma_f64 v[211:212], v[211:212], v[192:193], -v[2:3]
	v_fma_f64 v[213:214], v[213:214], v[192:193], v[4:5]
	global_load_b128 v[192:195], v[0:1], off offset:1728
	ds_store_b128 v217, v[211:214]
	ds_load_b128 v[211:214], v218 offset:1568
	ds_load_b128 v[232:235], v218 offset:9408
	;; [unrolled: 1-line block ×8, first 2 shown]
	s_waitcnt vmcnt(4) lgkmcnt(7)
	v_mul_f64 v[2:3], v[213:214], v[201:202]
	v_mul_f64 v[4:5], v[211:212], v[201:202]
	s_delay_alu instid0(VALU_DEP_2) | instskip(NEXT) | instid1(VALU_DEP_2)
	v_fma_f64 v[211:212], v[211:212], v[199:200], -v[2:3]
	v_fma_f64 v[213:214], v[213:214], v[199:200], v[4:5]
	ds_load_b128 v[199:202], v218 offset:3136
	s_waitcnt vmcnt(3) lgkmcnt(0)
	v_mul_f64 v[2:3], v[201:202], v[205:206]
	v_mul_f64 v[4:5], v[199:200], v[205:206]
	s_delay_alu instid0(VALU_DEP_2) | instskip(NEXT) | instid1(VALU_DEP_2)
	v_fma_f64 v[199:200], v[199:200], v[203:204], -v[2:3]
	v_fma_f64 v[201:202], v[201:202], v[203:204], v[4:5]
	ds_load_b128 v[203:206], v218 offset:4704
	;; [unrolled: 7-line block ×4, first 2 shown]
	s_waitcnt vmcnt(0) lgkmcnt(0)
	v_mul_f64 v[2:3], v[230:231], v[194:195]
	v_mul_f64 v[4:5], v[228:229], v[194:195]
	s_delay_alu instid0(VALU_DEP_2) | instskip(NEXT) | instid1(VALU_DEP_2)
	v_fma_f64 v[228:229], v[228:229], v[192:193], -v[2:3]
	v_fma_f64 v[230:231], v[230:231], v[192:193], v[4:5]
	global_load_b128 v[192:195], v[0:1], off offset:3296
	s_waitcnt vmcnt(0)
	v_mul_f64 v[0:1], v[234:235], v[194:195]
	v_mul_f64 v[2:3], v[232:233], v[194:195]
	s_delay_alu instid0(VALU_DEP_2) | instskip(SKIP_1) | instid1(VALU_DEP_1)
	v_fma_f64 v[232:233], v[232:233], v[192:193], -v[0:1]
	v_add_co_u32 v0, s0, 0x9000, v197
	v_add_co_ci_u32_e64 v1, s0, 0, v198, s0
	s_delay_alu instid0(VALU_DEP_4) | instskip(SKIP_4) | instid1(VALU_DEP_2)
	v_fma_f64 v[234:235], v[234:235], v[192:193], v[2:3]
	global_load_b128 v[192:195], v[0:1], off offset:768
	s_waitcnt vmcnt(0)
	v_mul_f64 v[2:3], v[238:239], v[194:195]
	v_mul_f64 v[4:5], v[236:237], v[194:195]
	v_fma_f64 v[236:237], v[236:237], v[192:193], -v[2:3]
	s_delay_alu instid0(VALU_DEP_2) | instskip(SKIP_4) | instid1(VALU_DEP_2)
	v_fma_f64 v[238:239], v[238:239], v[192:193], v[4:5]
	global_load_b128 v[192:195], v[0:1], off offset:2336
	s_waitcnt vmcnt(0)
	v_mul_f64 v[2:3], v[245:246], v[194:195]
	v_mul_f64 v[4:5], v[243:244], v[194:195]
	v_fma_f64 v[243:244], v[243:244], v[192:193], -v[2:3]
	s_delay_alu instid0(VALU_DEP_2) | instskip(SKIP_4) | instid1(VALU_DEP_2)
	v_fma_f64 v[245:246], v[245:246], v[192:193], v[4:5]
	global_load_b128 v[192:195], v[0:1], off offset:3904
	s_waitcnt vmcnt(0)
	v_mul_f64 v[0:1], v[249:250], v[194:195]
	v_mul_f64 v[2:3], v[247:248], v[194:195]
	v_fma_f64 v[247:248], v[247:248], v[192:193], -v[0:1]
	v_add_co_u32 v0, s0, 0xa000, v197
	s_delay_alu instid0(VALU_DEP_1) | instskip(NEXT) | instid1(VALU_DEP_4)
	v_add_co_ci_u32_e64 v1, s0, 0, v198, s0
	v_fma_f64 v[249:250], v[249:250], v[192:193], v[2:3]
	v_add_co_u32 v8, s0, 0xb000, v197
	global_load_b128 v[192:195], v[0:1], off offset:1376
	v_add_co_ci_u32_e64 v9, s0, 0, v198, s0
	s_waitcnt vmcnt(0)
	v_mul_f64 v[2:3], v[253:254], v[194:195]
	v_mul_f64 v[4:5], v[251:252], v[194:195]
	s_delay_alu instid0(VALU_DEP_2) | instskip(NEXT) | instid1(VALU_DEP_2)
	v_fma_f64 v[251:252], v[251:252], v[192:193], -v[2:3]
	v_fma_f64 v[253:254], v[253:254], v[192:193], v[4:5]
	global_load_b128 v[192:195], v[0:1], off offset:2944
	s_waitcnt vmcnt(0)
	v_mul_f64 v[0:1], v[221:222], v[194:195]
	v_mul_f64 v[2:3], v[219:220], v[194:195]
	s_delay_alu instid0(VALU_DEP_2) | instskip(NEXT) | instid1(VALU_DEP_2)
	v_fma_f64 v[219:220], v[219:220], v[192:193], -v[0:1]
	v_fma_f64 v[221:222], v[221:222], v[192:193], v[2:3]
	global_load_b128 v[192:195], v[8:9], off offset:416
	ds_load_b128 v[0:3], v218 offset:18816
	s_waitcnt vmcnt(0) lgkmcnt(0)
	v_mul_f64 v[4:5], v[2:3], v[194:195]
	v_mul_f64 v[6:7], v[0:1], v[194:195]
	s_delay_alu instid0(VALU_DEP_2) | instskip(NEXT) | instid1(VALU_DEP_2)
	v_fma_f64 v[0:1], v[0:1], v[192:193], -v[4:5]
	v_fma_f64 v[2:3], v[2:3], v[192:193], v[6:7]
	global_load_b128 v[192:195], v[8:9], off offset:1984
	ds_load_b128 v[4:7], v218 offset:20384
	s_waitcnt vmcnt(0) lgkmcnt(0)
	;; [unrolled: 8-line block ×3, first 2 shown]
	v_mul_f64 v[12:13], v[10:11], v[194:195]
	v_mul_f64 v[14:15], v[8:9], v[194:195]
	s_delay_alu instid0(VALU_DEP_2) | instskip(SKIP_1) | instid1(VALU_DEP_1)
	v_fma_f64 v[8:9], v[8:9], v[192:193], -v[12:13]
	v_add_co_u32 v12, s0, 0xc000, v197
	v_add_co_ci_u32_e64 v13, s0, 0, v198, s0
	s_delay_alu instid0(VALU_DEP_4) | instskip(SKIP_4) | instid1(VALU_DEP_2)
	v_fma_f64 v[10:11], v[10:11], v[192:193], v[14:15]
	global_load_b128 v[192:195], v[12:13], off offset:1024
	s_waitcnt vmcnt(0)
	v_mul_f64 v[14:15], v[225:226], v[194:195]
	v_mul_f64 v[194:195], v[223:224], v[194:195]
	v_fma_f64 v[223:224], v[223:224], v[192:193], -v[14:15]
	s_delay_alu instid0(VALU_DEP_2)
	v_fma_f64 v[225:226], v[225:226], v[192:193], v[194:195]
	global_load_b128 v[192:195], v[12:13], off offset:2592
	ds_load_b128 v[12:15], v218 offset:25088
	ds_store_b128 v218, v[211:214] offset:1568
	ds_store_b128 v218, v[199:202] offset:3136
	;; [unrolled: 1-line block ×8, first 2 shown]
	v_dual_mov_b32 v246, v19 :: v_dual_mov_b32 v245, v18
	ds_store_b128 v218, v[247:250] offset:14112
	ds_store_b128 v218, v[251:254] offset:15680
	v_dual_mov_b32 v250, v23 :: v_dual_mov_b32 v249, v22
	v_dual_mov_b32 v254, v27 :: v_dual_mov_b32 v253, v26
	;; [unrolled: 1-line block ×5, first 2 shown]
	s_waitcnt vmcnt(0) lgkmcnt(10)
	v_mul_f64 v[197:198], v[14:15], v[194:195]
	v_mul_f64 v[194:195], v[12:13], v[194:195]
	s_delay_alu instid0(VALU_DEP_2) | instskip(NEXT) | instid1(VALU_DEP_2)
	v_fma_f64 v[12:13], v[12:13], v[192:193], -v[197:198]
	v_fma_f64 v[14:15], v[14:15], v[192:193], v[194:195]
	ds_store_b128 v218, v[219:222] offset:17248
	ds_store_b128 v218, v[0:3] offset:18816
	;; [unrolled: 1-line block ×6, first 2 shown]
.LBB0_9:
	s_or_b32 exec_lo, exec_lo, s1
	s_waitcnt lgkmcnt(0)
	s_barrier
	buffer_gl0_inv
	s_and_saveexec_b32 s0, vcc_lo
	s_cbranch_execz .LBB0_11
; %bb.10:
	ds_load_b128 v[136:139], v217
	ds_load_b128 v[140:143], v217 offset:1568
	ds_load_b128 v[144:147], v217 offset:3136
	;; [unrolled: 1-line block ×16, first 2 shown]
.LBB0_11:
	s_or_b32 exec_lo, exec_lo, s0
	s_waitcnt lgkmcnt(0)
	s_barrier
	buffer_gl0_inv
	s_and_saveexec_b32 s33, vcc_lo
	s_cbranch_execz .LBB0_13
; %bb.12:
	v_add_f64 v[0:1], v[138:139], v[142:143]
	v_add_f64 v[2:3], v[136:137], v[140:141]
	v_add_f64 v[213:214], v[140:141], -v[243:244]
	s_mov_b32 s8, 0xacd6c6b4
	s_mov_b32 s9, 0xbfc7851a
	v_add_f64 v[207:208], v[144:145], -v[247:248]
	v_add_f64 v[211:212], v[142:143], v[245:246]
	s_mov_b32 s34, 0x5d8e7cdc
	s_mov_b32 s0, 0x7faef3
	;; [unrolled: 1-line block ×4, first 2 shown]
	v_add_f64 v[201:202], v[146:147], v[249:250]
	v_add_f64 v[215:216], v[142:143], -v[245:246]
	s_mov_b32 s26, 0x370991
	s_mov_b32 s27, 0x3fedd6d0
	v_add_f64 v[205:206], v[146:147], -v[249:250]
	v_add_f64 v[209:210], v[140:141], v[243:244]
	v_add_f64 v[203:204], v[144:145], v[247:248]
	v_add_f64 v[199:200], v[148:149], -v[251:252]
	s_mov_b32 s18, 0x4363dd80
	s_mov_b32 s19, 0xbfe0d888
	v_add_f64 v[192:193], v[190:191], v[186:187]
	s_mov_b32 s2, 0x910ea3b9
	s_mov_b32 s3, 0xbfeb34fa
	v_add_f64 v[197:198], v[150:151], -v[253:254]
	v_add_f64 v[194:195], v[188:189], -v[184:185]
	s_mov_b32 s42, 0x2a9d6da3
	s_mov_b32 s43, 0x3fe58eea
	;; [unrolled: 1-line block ×12, first 2 shown]
	v_add_f64 v[0:1], v[0:1], v[146:147]
	v_add_f64 v[2:3], v[2:3], v[144:145]
	v_mul_f64 v[8:9], v[213:214], s[8:9]
	s_mov_b32 s30, 0x923c349f
	s_mov_b32 s31, 0xbfeec746
	v_mul_f64 v[10:11], v[207:208], s[34:35]
	s_mov_b32 s20, 0xc61f0d01
	s_mov_b32 s21, 0xbfd183b1
	;; [unrolled: 1-line block ×6, first 2 shown]
	v_mul_f64 v[12:13], v[215:216], s[8:9]
	s_mov_b32 s37, 0xbfefdd0d
	s_mov_b32 s36, s54
	v_mul_f64 v[14:15], v[205:206], s[34:35]
	s_mov_b32 s53, 0x3fe9895b
	s_mov_b32 s52, s24
	;; [unrolled: 1-line block ×9, first 2 shown]
	v_mul_f64 v[230:231], v[194:195], s[54:55]
	v_mul_f64 v[238:239], v[194:195], s[30:31]
	s_mov_b32 s50, s18
	s_mov_b32 s49, 0xbfeca52d
	;; [unrolled: 1-line block ×3, first 2 shown]
	v_mul_f64 v[20:21], v[194:195], s[42:43]
	v_add_f64 v[0:1], v[0:1], v[150:151]
	v_add_f64 v[2:3], v[2:3], v[148:149]
	v_fma_f64 v[6:7], v[201:202], s[26:27], v[10:11]
	v_fma_f64 v[10:11], v[201:202], s[26:27], -v[10:11]
	v_fma_f64 v[140:141], v[203:204], s[26:27], -v[14:15]
	v_fma_f64 v[22:23], v[192:193], s[16:17], v[20:21]
	v_add_f64 v[0:1], v[0:1], v[154:155]
	v_add_f64 v[2:3], v[2:3], v[152:153]
	s_delay_alu instid0(VALU_DEP_2) | instskip(NEXT) | instid1(VALU_DEP_2)
	v_add_f64 v[0:1], v[0:1], v[158:159]
	v_add_f64 v[2:3], v[2:3], v[156:157]
	s_delay_alu instid0(VALU_DEP_2) | instskip(NEXT) | instid1(VALU_DEP_2)
	;; [unrolled: 3-line block ×4, first 2 shown]
	v_add_f64 v[0:1], v[0:1], v[190:191]
	v_add_f64 v[2:3], v[2:3], v[188:189]
	v_add_f64 v[190:191], v[190:191], -v[186:187]
	v_add_f64 v[188:189], v[188:189], v[184:185]
	s_delay_alu instid0(VALU_DEP_4) | instskip(NEXT) | instid1(VALU_DEP_4)
	v_add_f64 v[0:1], v[0:1], v[186:187]
	v_add_f64 v[2:3], v[2:3], v[184:185]
	v_add_f64 v[186:187], v[160:161], -v[180:181]
	v_add_f64 v[160:161], v[160:161], v[180:181]
	v_add_f64 v[184:185], v[162:163], v[182:183]
	v_add_f64 v[162:163], v[162:163], -v[182:183]
	v_mul_f64 v[232:233], v[190:191], s[54:55]
	v_add_f64 v[0:1], v[0:1], v[182:183]
	v_add_f64 v[2:3], v[2:3], v[180:181]
	;; [unrolled: 1-line block ×3, first 2 shown]
	v_add_f64 v[170:171], v[170:171], -v[178:179]
	v_add_f64 v[182:183], v[168:169], -v[176:177]
	v_add_f64 v[168:169], v[168:169], v[176:177]
	v_mul_f64 v[234:235], v[186:187], s[42:43]
	v_mul_f64 v[236:237], v[162:163], s[42:43]
	;; [unrolled: 1-line block ×5, first 2 shown]
	v_add_f64 v[0:1], v[0:1], v[178:179]
	v_add_f64 v[2:3], v[2:3], v[176:177]
	v_add_f64 v[178:179], v[156:157], -v[172:173]
	v_add_f64 v[156:157], v[156:157], v[172:173]
	v_add_f64 v[176:177], v[158:159], v[174:175]
	v_add_f64 v[158:159], v[158:159], -v[174:175]
	v_mul_f64 v[24:25], v[170:171], s[40:41]
	v_fma_f64 v[18:19], v[184:185], s[10:11], v[16:17]
	v_fma_f64 v[16:17], v[184:185], s[10:11], -v[16:17]
	v_fma_f64 v[30:31], v[160:161], s[28:29], -v[28:29]
	;; [unrolled: 1-line block ×3, first 2 shown]
	v_add_f64 v[0:1], v[0:1], v[174:175]
	v_add_f64 v[2:3], v[2:3], v[172:173]
	;; [unrolled: 1-line block ×3, first 2 shown]
	v_add_f64 v[154:155], v[154:155], -v[166:167]
	v_add_f64 v[174:175], v[152:153], -v[164:165]
	v_add_f64 v[152:153], v[152:153], v[164:165]
	v_fma_f64 v[26:27], v[168:169], s[26:27], -v[24:25]
	v_mul_f64 v[32:33], v[158:159], s[50:51]
	v_add_f64 v[0:1], v[0:1], v[166:167]
	v_add_f64 v[2:3], v[2:3], v[164:165]
	;; [unrolled: 1-line block ×4, first 2 shown]
	v_fma_f64 v[34:35], v[156:157], s[2:3], -v[32:33]
	v_add_f64 v[0:1], v[0:1], v[253:254]
	v_add_f64 v[2:3], v[2:3], v[251:252]
	s_delay_alu instid0(VALU_DEP_2) | instskip(NEXT) | instid1(VALU_DEP_2)
	v_add_f64 v[0:1], v[0:1], v[249:250]
	v_add_f64 v[4:5], v[2:3], v[247:248]
	v_mul_f64 v[247:248], v[162:163], s[8:9]
	v_mul_f64 v[249:250], v[194:195], s[38:39]
	s_delay_alu instid0(VALU_DEP_4) | instskip(NEXT) | instid1(VALU_DEP_4)
	v_add_f64 v[2:3], v[0:1], v[245:246]
	v_add_f64 v[0:1], v[4:5], v[243:244]
	v_fma_f64 v[4:5], v[211:212], s[0:1], v[8:9]
	v_fma_f64 v[8:9], v[211:212], s[0:1], -v[8:9]
	v_mul_f64 v[245:246], v[186:187], s[8:9]
	scratch_store_b128 off, v[0:3], off offset:136 ; 16-byte Folded Spill
	v_add_f64 v[4:5], v[138:139], v[4:5]
	v_add_f64 v[8:9], v[138:139], v[8:9]
	s_delay_alu instid0(VALU_DEP_2) | instskip(SKIP_1) | instid1(VALU_DEP_3)
	v_add_f64 v[4:5], v[6:7], v[4:5]
	v_fma_f64 v[6:7], v[209:210], s[0:1], -v[12:13]
	v_add_f64 v[8:9], v[10:11], v[8:9]
	v_fma_f64 v[10:11], v[209:210], s[0:1], v[12:13]
	v_fma_f64 v[12:13], v[203:204], s[26:27], v[14:15]
	;; [unrolled: 1-line block ×3, first 2 shown]
	v_add_f64 v[6:7], v[136:137], v[6:7]
	s_delay_alu instid0(VALU_DEP_4) | instskip(NEXT) | instid1(VALU_DEP_2)
	v_add_f64 v[10:11], v[136:137], v[10:11]
	v_add_f64 v[6:7], v[140:141], v[6:7]
	v_mul_f64 v[140:141], v[199:200], s[18:19]
	s_delay_alu instid0(VALU_DEP_3) | instskip(NEXT) | instid1(VALU_DEP_2)
	v_add_f64 v[10:11], v[12:13], v[10:11]
	v_fma_f64 v[142:143], v[166:167], s[2:3], v[140:141]
	v_fma_f64 v[12:13], v[166:167], s[2:3], -v[140:141]
	s_delay_alu instid0(VALU_DEP_2) | instskip(SKIP_1) | instid1(VALU_DEP_3)
	v_add_f64 v[4:5], v[142:143], v[4:5]
	v_mul_f64 v[142:143], v[197:198], s[18:19]
	v_add_f64 v[8:9], v[12:13], v[8:9]
	s_delay_alu instid0(VALU_DEP_2) | instskip(SKIP_1) | instid1(VALU_DEP_2)
	v_fma_f64 v[144:145], v[164:165], s[2:3], -v[142:143]
	v_fma_f64 v[12:13], v[164:165], s[2:3], v[142:143]
	v_add_f64 v[6:7], v[144:145], v[6:7]
	v_mul_f64 v[144:145], v[174:175], s[42:43]
	s_delay_alu instid0(VALU_DEP_3) | instskip(NEXT) | instid1(VALU_DEP_2)
	v_add_f64 v[10:11], v[12:13], v[10:11]
	v_fma_f64 v[146:147], v[172:173], s[16:17], v[144:145]
	v_fma_f64 v[12:13], v[172:173], s[16:17], -v[144:145]
	v_mul_f64 v[144:145], v[207:208], s[38:39]
	s_delay_alu instid0(VALU_DEP_3) | instskip(SKIP_1) | instid1(VALU_DEP_4)
	v_add_f64 v[4:5], v[146:147], v[4:5]
	v_mul_f64 v[146:147], v[154:155], s[42:43]
	v_add_f64 v[8:9], v[12:13], v[8:9]
	s_delay_alu instid0(VALU_DEP_4) | instskip(SKIP_1) | instid1(VALU_DEP_4)
	v_fma_f64 v[140:141], v[201:202], s[22:23], v[144:145]
	v_fma_f64 v[144:145], v[201:202], s[22:23], -v[144:145]
	v_fma_f64 v[148:149], v[152:153], s[16:17], -v[146:147]
	v_fma_f64 v[12:13], v[152:153], s[16:17], v[146:147]
	v_mul_f64 v[146:147], v[215:216], s[18:19]
	s_delay_alu instid0(VALU_DEP_3) | instskip(SKIP_1) | instid1(VALU_DEP_4)
	v_add_f64 v[6:7], v[148:149], v[6:7]
	v_mul_f64 v[148:149], v[178:179], s[24:25]
	v_add_f64 v[10:11], v[12:13], v[10:11]
	s_delay_alu instid0(VALU_DEP_2) | instskip(SKIP_2) | instid1(VALU_DEP_3)
	v_fma_f64 v[150:151], v[176:177], s[10:11], v[148:149]
	v_fma_f64 v[12:13], v[176:177], s[10:11], -v[148:149]
	v_mul_f64 v[148:149], v[205:206], s[38:39]
	v_add_f64 v[4:5], v[150:151], v[4:5]
	v_mul_f64 v[150:151], v[158:159], s[24:25]
	s_delay_alu instid0(VALU_DEP_4) | instskip(NEXT) | instid1(VALU_DEP_4)
	v_add_f64 v[8:9], v[12:13], v[8:9]
	v_fma_f64 v[142:143], v[203:204], s[22:23], -v[148:149]
	s_delay_alu instid0(VALU_DEP_3) | instskip(SKIP_2) | instid1(VALU_DEP_3)
	v_fma_f64 v[219:220], v[156:157], s[10:11], -v[150:151]
	v_fma_f64 v[12:13], v[156:157], s[10:11], v[150:151]
	v_mul_f64 v[150:151], v[199:200], s[36:37]
	v_add_f64 v[6:7], v[219:220], v[6:7]
	v_mul_f64 v[219:220], v[182:183], s[38:39]
	s_delay_alu instid0(VALU_DEP_4) | instskip(NEXT) | instid1(VALU_DEP_2)
	v_add_f64 v[10:11], v[12:13], v[10:11]
	v_fma_f64 v[221:222], v[180:181], s[22:23], v[219:220]
	v_fma_f64 v[12:13], v[180:181], s[22:23], -v[219:220]
	v_mul_f64 v[219:220], v[197:198], s[36:37]
	s_delay_alu instid0(VALU_DEP_3) | instskip(SKIP_1) | instid1(VALU_DEP_4)
	v_add_f64 v[4:5], v[221:222], v[4:5]
	v_mul_f64 v[221:222], v[170:171], s[38:39]
	v_add_f64 v[8:9], v[12:13], v[8:9]
	s_delay_alu instid0(VALU_DEP_2) | instskip(SKIP_2) | instid1(VALU_DEP_3)
	v_fma_f64 v[223:224], v[168:169], s[22:23], -v[221:222]
	v_fma_f64 v[12:13], v[168:169], s[22:23], v[221:222]
	v_mul_f64 v[221:222], v[174:175], s[52:53]
	v_add_f64 v[6:7], v[223:224], v[6:7]
	v_mul_f64 v[223:224], v[186:187], s[30:31]
	s_delay_alu instid0(VALU_DEP_4) | instskip(NEXT) | instid1(VALU_DEP_2)
	v_add_f64 v[10:11], v[12:13], v[10:11]
	v_fma_f64 v[225:226], v[184:185], s[20:21], v[223:224]
	v_fma_f64 v[12:13], v[184:185], s[20:21], -v[223:224]
	v_mul_f64 v[223:224], v[154:155], s[52:53]
	s_delay_alu instid0(VALU_DEP_3) | instskip(SKIP_1) | instid1(VALU_DEP_4)
	v_add_f64 v[4:5], v[225:226], v[4:5]
	v_mul_f64 v[225:226], v[162:163], s[30:31]
	v_add_f64 v[8:9], v[12:13], v[8:9]
	s_delay_alu instid0(VALU_DEP_2) | instskip(SKIP_2) | instid1(VALU_DEP_3)
	v_fma_f64 v[12:13], v[160:161], s[20:21], v[225:226]
	v_fma_f64 v[228:229], v[160:161], s[20:21], -v[225:226]
	v_mul_f64 v[225:226], v[178:179], s[40:41]
	v_add_f64 v[12:13], v[12:13], v[10:11]
	v_fma_f64 v[10:11], v[192:193], s[28:29], -v[230:231]
	s_delay_alu instid0(VALU_DEP_4) | instskip(SKIP_2) | instid1(VALU_DEP_4)
	v_add_f64 v[228:229], v[228:229], v[6:7]
	v_fma_f64 v[6:7], v[192:193], s[28:29], v[230:231]
	v_mul_f64 v[230:231], v[182:183], s[8:9]
	v_add_f64 v[10:11], v[10:11], v[8:9]
	v_add_f64 v[8:9], v[14:15], v[12:13]
	v_mul_f64 v[12:13], v[213:214], s[18:19]
	v_add_f64 v[2:3], v[6:7], v[4:5]
	v_fma_f64 v[4:5], v[188:189], s[28:29], -v[232:233]
	v_mul_f64 v[232:233], v[170:171], s[8:9]
	s_delay_alu instid0(VALU_DEP_4) | instskip(SKIP_1) | instid1(VALU_DEP_4)
	v_fma_f64 v[14:15], v[211:212], s[2:3], v[12:13]
	v_fma_f64 v[12:13], v[211:212], s[2:3], -v[12:13]
	v_add_f64 v[0:1], v[4:5], v[228:229]
	v_mul_f64 v[228:229], v[158:159], s[40:41]
	v_dual_mov_b32 v4, v241 :: v_dual_mov_b32 v5, v240
	v_add_f64 v[14:15], v[138:139], v[14:15]
	v_add_f64 v[12:13], v[138:139], v[12:13]
	scratch_store_b128 off, v[0:3], off offset:152 ; 16-byte Folded Spill
	v_mul_f64 v[0:1], v[194:195], s[24:25]
	v_add_f64 v[14:15], v[140:141], v[14:15]
	v_fma_f64 v[140:141], v[209:210], s[2:3], -v[146:147]
	v_add_f64 v[12:13], v[144:145], v[12:13]
	v_fma_f64 v[144:145], v[209:210], s[2:3], v[146:147]
	v_fma_f64 v[146:147], v[203:204], s[22:23], v[148:149]
	;; [unrolled: 1-line block ×3, first 2 shown]
	v_fma_f64 v[0:1], v[192:193], s[10:11], -v[0:1]
	v_add_f64 v[140:141], v[136:137], v[140:141]
	v_add_f64 v[144:145], v[136:137], v[144:145]
	s_delay_alu instid0(VALU_DEP_2) | instskip(SKIP_1) | instid1(VALU_DEP_3)
	v_add_f64 v[140:141], v[142:143], v[140:141]
	v_fma_f64 v[142:143], v[166:167], s[28:29], v[150:151]
	v_add_f64 v[144:145], v[146:147], v[144:145]
	v_fma_f64 v[146:147], v[166:167], s[28:29], -v[150:151]
	s_delay_alu instid0(VALU_DEP_3) | instskip(SKIP_1) | instid1(VALU_DEP_3)
	v_add_f64 v[14:15], v[142:143], v[14:15]
	v_fma_f64 v[142:143], v[164:165], s[28:29], -v[219:220]
	v_add_f64 v[12:13], v[146:147], v[12:13]
	v_fma_f64 v[146:147], v[164:165], s[28:29], v[219:220]
	v_mul_f64 v[219:220], v[207:208], s[46:47]
	s_delay_alu instid0(VALU_DEP_4) | instskip(SKIP_1) | instid1(VALU_DEP_4)
	v_add_f64 v[140:141], v[142:143], v[140:141]
	v_fma_f64 v[142:143], v[172:173], s[10:11], v[221:222]
	v_add_f64 v[144:145], v[146:147], v[144:145]
	v_fma_f64 v[146:147], v[172:173], s[10:11], -v[221:222]
	v_fma_f64 v[148:149], v[201:202], s[20:21], v[219:220]
	v_mul_f64 v[221:222], v[215:216], s[24:25]
	v_fma_f64 v[219:220], v[201:202], s[20:21], -v[219:220]
	v_add_f64 v[14:15], v[142:143], v[14:15]
	v_fma_f64 v[142:143], v[152:153], s[10:11], -v[223:224]
	v_add_f64 v[12:13], v[146:147], v[12:13]
	v_fma_f64 v[146:147], v[152:153], s[10:11], v[223:224]
	v_mul_f64 v[223:224], v[205:206], s[46:47]
	s_delay_alu instid0(VALU_DEP_4) | instskip(SKIP_1) | instid1(VALU_DEP_4)
	v_add_f64 v[140:141], v[142:143], v[140:141]
	v_fma_f64 v[142:143], v[176:177], s[26:27], v[225:226]
	v_add_f64 v[144:145], v[146:147], v[144:145]
	v_fma_f64 v[146:147], v[176:177], s[26:27], -v[225:226]
	v_fma_f64 v[150:151], v[203:204], s[20:21], -v[223:224]
	v_mul_f64 v[225:226], v[199:200], s[40:41]
	v_add_f64 v[14:15], v[142:143], v[14:15]
	v_fma_f64 v[142:143], v[156:157], s[26:27], -v[228:229]
	v_add_f64 v[12:13], v[146:147], v[12:13]
	v_fma_f64 v[146:147], v[156:157], s[26:27], v[228:229]
	v_mul_f64 v[228:229], v[197:198], s[40:41]
	s_delay_alu instid0(VALU_DEP_4) | instskip(SKIP_1) | instid1(VALU_DEP_4)
	v_add_f64 v[140:141], v[142:143], v[140:141]
	v_fma_f64 v[142:143], v[180:181], s[0:1], v[230:231]
	v_add_f64 v[144:145], v[146:147], v[144:145]
	v_fma_f64 v[146:147], v[180:181], s[0:1], -v[230:231]
	v_mul_f64 v[230:231], v[174:175], s[18:19]
	s_delay_alu instid0(VALU_DEP_4) | instskip(SKIP_1) | instid1(VALU_DEP_4)
	v_add_f64 v[14:15], v[142:143], v[14:15]
	v_fma_f64 v[142:143], v[168:169], s[0:1], -v[232:233]
	v_add_f64 v[12:13], v[146:147], v[12:13]
	v_fma_f64 v[146:147], v[168:169], s[0:1], v[232:233]
	v_mul_f64 v[232:233], v[154:155], s[18:19]
	s_delay_alu instid0(VALU_DEP_4) | instskip(SKIP_1) | instid1(VALU_DEP_4)
	v_add_f64 v[140:141], v[142:143], v[140:141]
	v_fma_f64 v[142:143], v[184:185], s[16:17], v[234:235]
	v_add_f64 v[144:145], v[146:147], v[144:145]
	v_fma_f64 v[146:147], v[184:185], s[16:17], -v[234:235]
	v_mul_f64 v[234:235], v[178:179], s[54:55]
	s_delay_alu instid0(VALU_DEP_4) | instskip(SKIP_1) | instid1(VALU_DEP_4)
	;; [unrolled: 12-line block ×3, first 2 shown]
	v_add_f64 v[142:143], v[142:143], v[14:15]
	v_mul_f64 v[14:15], v[190:191], s[30:31]
	v_add_f64 v[146:147], v[146:147], v[12:13]
	v_mul_f64 v[12:13], v[213:214], s[24:25]
	s_delay_alu instid0(VALU_DEP_3) | instskip(SKIP_1) | instid1(VALU_DEP_2)
	v_fma_f64 v[243:244], v[188:189], s[20:21], -v[14:15]
	v_fma_f64 v[14:15], v[188:189], s[20:21], v[14:15]
	v_add_f64 v[140:141], v[243:244], v[140:141]
	s_delay_alu instid0(VALU_DEP_2) | instskip(SKIP_3) | instid1(VALU_DEP_3)
	v_add_f64 v[144:145], v[14:15], v[144:145]
	v_fma_f64 v[14:15], v[211:212], s[10:11], v[12:13]
	v_fma_f64 v[12:13], v[211:212], s[10:11], -v[12:13]
	v_mul_f64 v[243:244], v[170:171], s[44:45]
	v_add_f64 v[14:15], v[138:139], v[14:15]
	s_delay_alu instid0(VALU_DEP_3) | instskip(NEXT) | instid1(VALU_DEP_2)
	v_add_f64 v[12:13], v[138:139], v[12:13]
	v_add_f64 v[14:15], v[148:149], v[14:15]
	v_fma_f64 v[148:149], v[209:210], s[10:11], -v[221:222]
	s_delay_alu instid0(VALU_DEP_3) | instskip(SKIP_2) | instid1(VALU_DEP_4)
	v_add_f64 v[12:13], v[219:220], v[12:13]
	v_fma_f64 v[219:220], v[209:210], s[10:11], v[221:222]
	v_fma_f64 v[221:222], v[203:204], s[20:21], v[223:224]
	v_add_f64 v[148:149], v[136:137], v[148:149]
	s_delay_alu instid0(VALU_DEP_3) | instskip(NEXT) | instid1(VALU_DEP_2)
	v_add_f64 v[219:220], v[136:137], v[219:220]
	v_add_f64 v[148:149], v[150:151], v[148:149]
	v_fma_f64 v[150:151], v[166:167], s[26:27], v[225:226]
	s_delay_alu instid0(VALU_DEP_3) | instskip(SKIP_2) | instid1(VALU_DEP_4)
	v_add_f64 v[219:220], v[221:222], v[219:220]
	v_fma_f64 v[221:222], v[166:167], s[26:27], -v[225:226]
	v_mul_f64 v[225:226], v[207:208], s[50:51]
	v_add_f64 v[14:15], v[150:151], v[14:15]
	v_fma_f64 v[150:151], v[164:165], s[26:27], -v[228:229]
	s_delay_alu instid0(VALU_DEP_4) | instskip(SKIP_2) | instid1(VALU_DEP_4)
	v_add_f64 v[12:13], v[221:222], v[12:13]
	v_fma_f64 v[221:222], v[164:165], s[26:27], v[228:229]
	v_mul_f64 v[228:229], v[215:216], s[30:31]
	v_add_f64 v[148:149], v[150:151], v[148:149]
	v_fma_f64 v[150:151], v[172:173], s[2:3], v[230:231]
	s_delay_alu instid0(VALU_DEP_4) | instskip(SKIP_2) | instid1(VALU_DEP_4)
	v_add_f64 v[219:220], v[221:222], v[219:220]
	v_fma_f64 v[221:222], v[172:173], s[2:3], -v[230:231]
	v_mul_f64 v[230:231], v[205:206], s[50:51]
	v_add_f64 v[14:15], v[150:151], v[14:15]
	v_fma_f64 v[150:151], v[152:153], s[2:3], -v[232:233]
	s_delay_alu instid0(VALU_DEP_4) | instskip(SKIP_2) | instid1(VALU_DEP_4)
	v_add_f64 v[12:13], v[221:222], v[12:13]
	v_fma_f64 v[221:222], v[152:153], s[2:3], v[232:233]
	v_fma_f64 v[232:233], v[203:204], s[2:3], -v[230:231]
	v_add_f64 v[148:149], v[150:151], v[148:149]
	v_fma_f64 v[150:151], v[176:177], s[28:29], v[234:235]
	s_delay_alu instid0(VALU_DEP_4) | instskip(SKIP_1) | instid1(VALU_DEP_3)
	v_add_f64 v[219:220], v[221:222], v[219:220]
	v_fma_f64 v[221:222], v[176:177], s[28:29], -v[234:235]
	v_add_f64 v[14:15], v[150:151], v[14:15]
	v_fma_f64 v[150:151], v[156:157], s[28:29], -v[236:237]
	s_delay_alu instid0(VALU_DEP_3) | instskip(SKIP_1) | instid1(VALU_DEP_3)
	v_add_f64 v[12:13], v[221:222], v[12:13]
	v_fma_f64 v[221:222], v[156:157], s[28:29], v[236:237]
	v_add_f64 v[148:149], v[150:151], v[148:149]
	v_fma_f64 v[150:151], v[180:181], s[16:17], v[238:239]
	s_delay_alu instid0(VALU_DEP_3) | instskip(SKIP_1) | instid1(VALU_DEP_3)
	v_add_f64 v[219:220], v[221:222], v[219:220]
	v_fma_f64 v[221:222], v[180:181], s[16:17], -v[238:239]
	v_add_f64 v[14:15], v[150:151], v[14:15]
	v_fma_f64 v[150:151], v[168:169], s[16:17], -v[243:244]
	s_delay_alu instid0(VALU_DEP_3) | instskip(SKIP_1) | instid1(VALU_DEP_3)
	v_add_f64 v[12:13], v[221:222], v[12:13]
	v_fma_f64 v[221:222], v[168:169], s[16:17], v[243:244]
	v_add_f64 v[148:149], v[150:151], v[148:149]
	v_fma_f64 v[150:151], v[184:185], s[0:1], v[245:246]
	s_delay_alu instid0(VALU_DEP_3) | instskip(SKIP_1) | instid1(VALU_DEP_3)
	v_add_f64 v[219:220], v[221:222], v[219:220]
	v_fma_f64 v[221:222], v[184:185], s[0:1], -v[245:246]
	v_add_f64 v[14:15], v[150:151], v[14:15]
	v_fma_f64 v[150:151], v[160:161], s[0:1], -v[247:248]
	s_delay_alu instid0(VALU_DEP_3) | instskip(SKIP_1) | instid1(VALU_DEP_3)
	v_add_f64 v[12:13], v[221:222], v[12:13]
	v_fma_f64 v[221:222], v[160:161], s[0:1], v[247:248]
	v_add_f64 v[148:149], v[150:151], v[148:149]
	v_fma_f64 v[150:151], v[192:193], s[22:23], v[249:250]
	s_delay_alu instid0(VALU_DEP_3) | instskip(SKIP_1) | instid1(VALU_DEP_3)
	v_add_f64 v[219:220], v[221:222], v[219:220]
	v_fma_f64 v[221:222], v[192:193], s[22:23], -v[249:250]
	v_add_f64 v[150:151], v[150:151], v[14:15]
	v_mul_f64 v[14:15], v[190:191], s[38:39]
	s_delay_alu instid0(VALU_DEP_1)
	v_fma_f64 v[223:224], v[188:189], s[22:23], v[14:15]
	v_fma_f64 v[251:252], v[188:189], s[22:23], -v[14:15]
	v_add_f64 v[14:15], v[221:222], v[12:13]
	v_fma_f64 v[221:222], v[201:202], s[2:3], v[225:226]
	v_fma_f64 v[225:226], v[201:202], s[2:3], -v[225:226]
	v_add_f64 v[12:13], v[223:224], v[219:220]
	v_mul_f64 v[223:224], v[213:214], s[30:31]
	v_add_f64 v[148:149], v[251:252], v[148:149]
	s_delay_alu instid0(VALU_DEP_2) | instskip(SKIP_1) | instid1(VALU_DEP_2)
	v_fma_f64 v[219:220], v[211:212], s[20:21], v[223:224]
	v_fma_f64 v[223:224], v[211:212], s[20:21], -v[223:224]
	v_add_f64 v[219:220], v[138:139], v[219:220]
	s_delay_alu instid0(VALU_DEP_2) | instskip(NEXT) | instid1(VALU_DEP_2)
	v_add_f64 v[223:224], v[138:139], v[223:224]
	v_add_f64 v[219:220], v[221:222], v[219:220]
	v_fma_f64 v[221:222], v[209:210], s[20:21], -v[228:229]
	s_delay_alu instid0(VALU_DEP_3) | instskip(SKIP_2) | instid1(VALU_DEP_4)
	v_add_f64 v[223:224], v[225:226], v[223:224]
	v_fma_f64 v[225:226], v[209:210], s[20:21], v[228:229]
	v_fma_f64 v[228:229], v[203:204], s[2:3], v[230:231]
	v_add_f64 v[221:222], v[136:137], v[221:222]
	s_delay_alu instid0(VALU_DEP_3) | instskip(NEXT) | instid1(VALU_DEP_2)
	v_add_f64 v[225:226], v[136:137], v[225:226]
	v_add_f64 v[221:222], v[232:233], v[221:222]
	v_mul_f64 v[232:233], v[199:200], s[42:43]
	s_delay_alu instid0(VALU_DEP_3) | instskip(NEXT) | instid1(VALU_DEP_2)
	v_add_f64 v[225:226], v[228:229], v[225:226]
	v_fma_f64 v[234:235], v[166:167], s[16:17], v[232:233]
	v_fma_f64 v[228:229], v[166:167], s[16:17], -v[232:233]
	v_mul_f64 v[232:233], v[207:208], s[8:9]
	s_delay_alu instid0(VALU_DEP_3) | instskip(SKIP_1) | instid1(VALU_DEP_4)
	v_add_f64 v[219:220], v[234:235], v[219:220]
	v_mul_f64 v[234:235], v[197:198], s[42:43]
	v_add_f64 v[223:224], v[228:229], v[223:224]
	s_delay_alu instid0(VALU_DEP_2) | instskip(SKIP_2) | instid1(VALU_DEP_3)
	v_fma_f64 v[236:237], v[164:165], s[16:17], -v[234:235]
	v_fma_f64 v[228:229], v[164:165], s[16:17], v[234:235]
	v_mul_f64 v[234:235], v[215:216], s[36:37]
	v_add_f64 v[221:222], v[236:237], v[221:222]
	v_mul_f64 v[236:237], v[174:175], s[48:49]
	s_delay_alu instid0(VALU_DEP_4) | instskip(NEXT) | instid1(VALU_DEP_2)
	v_add_f64 v[225:226], v[228:229], v[225:226]
	v_fma_f64 v[238:239], v[172:173], s[22:23], v[236:237]
	v_fma_f64 v[228:229], v[172:173], s[22:23], -v[236:237]
	v_mul_f64 v[236:237], v[205:206], s[8:9]
	s_delay_alu instid0(VALU_DEP_3) | instskip(SKIP_1) | instid1(VALU_DEP_4)
	v_add_f64 v[219:220], v[238:239], v[219:220]
	v_mul_f64 v[238:239], v[154:155], s[48:49]
	v_add_f64 v[223:224], v[228:229], v[223:224]
	s_delay_alu instid0(VALU_DEP_4) | instskip(NEXT) | instid1(VALU_DEP_3)
	v_fma_f64 v[230:231], v[203:204], s[0:1], -v[236:237]
	v_fma_f64 v[243:244], v[152:153], s[22:23], -v[238:239]
	v_fma_f64 v[228:229], v[152:153], s[22:23], v[238:239]
	v_mul_f64 v[238:239], v[199:200], s[46:47]
	s_delay_alu instid0(VALU_DEP_3) | instskip(SKIP_1) | instid1(VALU_DEP_4)
	v_add_f64 v[221:222], v[243:244], v[221:222]
	v_mul_f64 v[243:244], v[178:179], s[8:9]
	v_add_f64 v[225:226], v[228:229], v[225:226]
	s_delay_alu instid0(VALU_DEP_2) | instskip(SKIP_2) | instid1(VALU_DEP_3)
	v_fma_f64 v[245:246], v[176:177], s[0:1], v[243:244]
	v_fma_f64 v[228:229], v[176:177], s[0:1], -v[243:244]
	v_mul_f64 v[243:244], v[174:175], s[34:35]
	v_add_f64 v[219:220], v[245:246], v[219:220]
	v_mul_f64 v[245:246], v[158:159], s[8:9]
	s_delay_alu instid0(VALU_DEP_4) | instskip(NEXT) | instid1(VALU_DEP_2)
	v_add_f64 v[223:224], v[228:229], v[223:224]
	v_fma_f64 v[247:248], v[156:157], s[0:1], -v[245:246]
	v_fma_f64 v[228:229], v[156:157], s[0:1], v[245:246]
	v_mul_f64 v[245:246], v[154:155], s[34:35]
	s_delay_alu instid0(VALU_DEP_3) | instskip(SKIP_1) | instid1(VALU_DEP_4)
	v_add_f64 v[221:222], v[247:248], v[221:222]
	v_mul_f64 v[247:248], v[182:183], s[54:55]
	v_add_f64 v[225:226], v[228:229], v[225:226]
	s_delay_alu instid0(VALU_DEP_2) | instskip(SKIP_2) | instid1(VALU_DEP_3)
	v_fma_f64 v[249:250], v[180:181], s[28:29], v[247:248]
	v_fma_f64 v[228:229], v[180:181], s[28:29], -v[247:248]
	v_mul_f64 v[247:248], v[178:179], s[48:49]
	v_add_f64 v[219:220], v[249:250], v[219:220]
	v_mul_f64 v[249:250], v[170:171], s[54:55]
	s_delay_alu instid0(VALU_DEP_4) | instskip(NEXT) | instid1(VALU_DEP_2)
	v_add_f64 v[223:224], v[228:229], v[223:224]
	;; [unrolled: 15-line block ×3, first 2 shown]
	v_fma_f64 v[240:241], v[160:161], s[26:27], -v[253:254]
	v_fma_f64 v[228:229], v[160:161], s[26:27], v[253:254]
	v_mul_f64 v[253:254], v[170:171], s[18:19]
	s_delay_alu instid0(VALU_DEP_3)
	v_add_f64 v[240:241], v[240:241], v[221:222]
	v_add_f64 v[221:222], v[2:3], v[219:220]
	v_mul_f64 v[2:3], v[190:191], s[24:25]
	v_add_f64 v[228:229], v[228:229], v[225:226]
	v_add_f64 v[225:226], v[0:1], v[223:224]
	v_mul_f64 v[0:1], v[213:214], s[36:37]
	s_delay_alu instid0(VALU_DEP_4) | instskip(SKIP_1) | instid1(VALU_DEP_2)
	v_fma_f64 v[219:220], v[188:189], s[10:11], -v[2:3]
	v_fma_f64 v[2:3], v[188:189], s[10:11], v[2:3]
	v_add_f64 v[219:220], v[219:220], v[240:241]
	s_delay_alu instid0(VALU_DEP_2) | instskip(SKIP_4) | instid1(VALU_DEP_4)
	v_add_f64 v[223:224], v[2:3], v[228:229]
	v_fma_f64 v[2:3], v[211:212], s[28:29], v[0:1]
	v_fma_f64 v[228:229], v[201:202], s[0:1], v[232:233]
	v_mul_f64 v[240:241], v[197:198], s[46:47]
	v_fma_f64 v[0:1], v[211:212], s[28:29], -v[0:1]
	v_add_f64 v[2:3], v[138:139], v[2:3]
	s_delay_alu instid0(VALU_DEP_2) | instskip(NEXT) | instid1(VALU_DEP_2)
	v_add_f64 v[0:1], v[138:139], v[0:1]
	v_add_f64 v[2:3], v[228:229], v[2:3]
	v_fma_f64 v[228:229], v[209:210], s[28:29], -v[234:235]
	s_delay_alu instid0(VALU_DEP_1) | instskip(NEXT) | instid1(VALU_DEP_1)
	v_add_f64 v[228:229], v[136:137], v[228:229]
	v_add_f64 v[228:229], v[230:231], v[228:229]
	v_fma_f64 v[230:231], v[166:167], s[20:21], v[238:239]
	s_delay_alu instid0(VALU_DEP_1) | instskip(SKIP_1) | instid1(VALU_DEP_1)
	v_add_f64 v[2:3], v[230:231], v[2:3]
	v_fma_f64 v[230:231], v[164:165], s[20:21], -v[240:241]
	v_add_f64 v[228:229], v[230:231], v[228:229]
	v_fma_f64 v[230:231], v[172:173], s[26:27], v[243:244]
	s_delay_alu instid0(VALU_DEP_1) | instskip(SKIP_1) | instid1(VALU_DEP_1)
	v_add_f64 v[2:3], v[230:231], v[2:3]
	v_fma_f64 v[230:231], v[152:153], s[26:27], -v[245:246]
	;; [unrolled: 5-line block ×3, first 2 shown]
	v_add_f64 v[228:229], v[230:231], v[228:229]
	v_fma_f64 v[230:231], v[180:181], s[2:3], v[251:252]
	s_delay_alu instid0(VALU_DEP_1) | instskip(SKIP_1) | instid1(VALU_DEP_2)
	v_add_f64 v[2:3], v[230:231], v[2:3]
	v_fma_f64 v[230:231], v[168:169], s[2:3], -v[253:254]
	v_add_f64 v[2:3], v[18:19], v[2:3]
	v_mul_f64 v[18:19], v[162:163], s[52:53]
	s_delay_alu instid0(VALU_DEP_3) | instskip(SKIP_2) | instid1(VALU_DEP_2)
	v_add_f64 v[228:229], v[230:231], v[228:229]
	s_mov_b32 s53, 0x3fc7851a
	s_mov_b32 s52, s8
	v_fma_f64 v[230:231], v[160:161], s[10:11], -v[18:19]
	s_delay_alu instid0(VALU_DEP_1) | instskip(SKIP_2) | instid1(VALU_DEP_1)
	v_add_f64 v[228:229], v[230:231], v[228:229]
	v_add_f64 v[230:231], v[22:23], v[2:3]
	v_mul_f64 v[2:3], v[190:191], s[42:43]
	v_fma_f64 v[22:23], v[188:189], s[16:17], -v[2:3]
	v_fma_f64 v[2:3], v[188:189], s[16:17], v[2:3]
	s_delay_alu instid0(VALU_DEP_2) | instskip(SKIP_2) | instid1(VALU_DEP_2)
	v_add_f64 v[228:229], v[22:23], v[228:229]
	v_fma_f64 v[22:23], v[201:202], s[0:1], -v[232:233]
	v_fma_f64 v[232:233], v[203:204], s[0:1], v[236:237]
	v_add_f64 v[0:1], v[22:23], v[0:1]
	v_fma_f64 v[22:23], v[209:210], s[28:29], v[234:235]
	s_delay_alu instid0(VALU_DEP_1) | instskip(NEXT) | instid1(VALU_DEP_1)
	v_add_f64 v[22:23], v[136:137], v[22:23]
	v_add_f64 v[22:23], v[232:233], v[22:23]
	v_fma_f64 v[232:233], v[166:167], s[20:21], -v[238:239]
	s_delay_alu instid0(VALU_DEP_1) | instskip(SKIP_2) | instid1(VALU_DEP_2)
	v_add_f64 v[0:1], v[232:233], v[0:1]
	v_fma_f64 v[232:233], v[164:165], s[20:21], v[240:241]
	v_mul_f64 v[240:241], v[199:200], s[52:53]
	v_add_f64 v[22:23], v[232:233], v[22:23]
	v_fma_f64 v[232:233], v[172:173], s[26:27], -v[243:244]
	v_mul_f64 v[243:244], v[197:198], s[52:53]
	s_delay_alu instid0(VALU_DEP_2) | instskip(SKIP_2) | instid1(VALU_DEP_2)
	v_add_f64 v[0:1], v[232:233], v[0:1]
	v_fma_f64 v[232:233], v[152:153], s[26:27], v[245:246]
	v_mul_f64 v[245:246], v[174:175], s[46:47]
	v_add_f64 v[22:23], v[232:233], v[22:23]
	v_fma_f64 v[232:233], v[176:177], s[22:23], -v[247:248]
	v_mul_f64 v[247:248], v[154:155], s[46:47]
	s_delay_alu instid0(VALU_DEP_2) | instskip(SKIP_2) | instid1(VALU_DEP_2)
	v_add_f64 v[0:1], v[232:233], v[0:1]
	v_fma_f64 v[232:233], v[156:157], s[22:23], v[249:250]
	v_mul_f64 v[249:250], v[178:179], s[42:43]
	v_add_f64 v[22:23], v[232:233], v[22:23]
	v_fma_f64 v[232:233], v[180:181], s[2:3], -v[251:252]
	v_mul_f64 v[251:252], v[158:159], s[42:43]
	s_delay_alu instid0(VALU_DEP_2) | instskip(SKIP_2) | instid1(VALU_DEP_3)
	v_add_f64 v[0:1], v[232:233], v[0:1]
	v_fma_f64 v[232:233], v[168:169], s[2:3], v[253:254]
	v_mul_f64 v[253:254], v[182:183], s[40:41]
	v_add_f64 v[0:1], v[16:17], v[0:1]
	s_delay_alu instid0(VALU_DEP_3) | instskip(SKIP_2) | instid1(VALU_DEP_2)
	v_add_f64 v[22:23], v[232:233], v[22:23]
	v_fma_f64 v[16:17], v[160:161], s[10:11], v[18:19]
	v_fma_f64 v[18:19], v[192:193], s[16:17], -v[20:21]
	v_add_f64 v[16:17], v[16:17], v[22:23]
	s_delay_alu instid0(VALU_DEP_2) | instskip(SKIP_2) | instid1(VALU_DEP_4)
	v_add_f64 v[234:235], v[18:19], v[0:1]
	v_mul_f64 v[0:1], v[213:214], s[48:49]
	v_mul_f64 v[22:23], v[205:206], s[24:25]
	v_add_f64 v[232:233], v[2:3], v[16:17]
	v_mul_f64 v[16:17], v[207:208], s[24:25]
	s_delay_alu instid0(VALU_DEP_4) | instskip(NEXT) | instid1(VALU_DEP_4)
	v_fma_f64 v[2:3], v[211:212], s[22:23], v[0:1]
	v_fma_f64 v[236:237], v[203:204], s[10:11], -v[22:23]
	v_fma_f64 v[0:1], v[211:212], s[22:23], -v[0:1]
	s_delay_alu instid0(VALU_DEP_4) | instskip(NEXT) | instid1(VALU_DEP_4)
	v_fma_f64 v[18:19], v[201:202], s[10:11], v[16:17]
	v_add_f64 v[2:3], v[138:139], v[2:3]
	v_fma_f64 v[16:17], v[201:202], s[10:11], -v[16:17]
	s_delay_alu instid0(VALU_DEP_4) | instskip(NEXT) | instid1(VALU_DEP_3)
	v_add_f64 v[0:1], v[138:139], v[0:1]
	v_add_f64 v[2:3], v[18:19], v[2:3]
	v_mul_f64 v[18:19], v[215:216], s[48:49]
	s_delay_alu instid0(VALU_DEP_3) | instskip(SKIP_1) | instid1(VALU_DEP_3)
	v_add_f64 v[0:1], v[16:17], v[0:1]
	v_fma_f64 v[16:17], v[166:167], s[0:1], -v[240:241]
	v_fma_f64 v[20:21], v[209:210], s[22:23], -v[18:19]
	s_delay_alu instid0(VALU_DEP_2) | instskip(SKIP_1) | instid1(VALU_DEP_3)
	v_add_f64 v[0:1], v[16:17], v[0:1]
	v_fma_f64 v[16:17], v[172:173], s[20:21], -v[245:246]
	v_add_f64 v[20:21], v[136:137], v[20:21]
	s_delay_alu instid0(VALU_DEP_2) | instskip(SKIP_1) | instid1(VALU_DEP_3)
	v_add_f64 v[0:1], v[16:17], v[0:1]
	v_fma_f64 v[16:17], v[176:177], s[16:17], -v[249:250]
	v_add_f64 v[20:21], v[236:237], v[20:21]
	v_fma_f64 v[236:237], v[166:167], s[0:1], v[240:241]
	v_mul_f64 v[240:241], v[205:206], s[36:37]
	s_delay_alu instid0(VALU_DEP_4) | instskip(SKIP_1) | instid1(VALU_DEP_4)
	v_add_f64 v[0:1], v[16:17], v[0:1]
	v_fma_f64 v[16:17], v[180:181], s[26:27], -v[253:254]
	v_add_f64 v[2:3], v[236:237], v[2:3]
	v_fma_f64 v[236:237], v[164:165], s[0:1], -v[243:244]
	s_delay_alu instid0(VALU_DEP_3) | instskip(NEXT) | instid1(VALU_DEP_2)
	v_add_f64 v[0:1], v[16:17], v[0:1]
	v_add_f64 v[20:21], v[236:237], v[20:21]
	v_fma_f64 v[236:237], v[172:173], s[20:21], v[245:246]
	s_delay_alu instid0(VALU_DEP_1) | instskip(SKIP_1) | instid1(VALU_DEP_1)
	v_add_f64 v[2:3], v[236:237], v[2:3]
	v_fma_f64 v[236:237], v[152:153], s[20:21], -v[247:248]
	v_add_f64 v[20:21], v[236:237], v[20:21]
	v_fma_f64 v[236:237], v[176:177], s[16:17], v[249:250]
	s_delay_alu instid0(VALU_DEP_1) | instskip(SKIP_1) | instid1(VALU_DEP_1)
	v_add_f64 v[2:3], v[236:237], v[2:3]
	v_fma_f64 v[236:237], v[156:157], s[16:17], -v[251:252]
	v_add_f64 v[20:21], v[236:237], v[20:21]
	v_fma_f64 v[236:237], v[180:181], s[26:27], v[253:254]
	v_mul_f64 v[253:254], v[154:155], s[8:9]
	s_delay_alu instid0(VALU_DEP_3) | instskip(SKIP_1) | instid1(VALU_DEP_4)
	v_add_f64 v[20:21], v[26:27], v[20:21]
	v_mul_f64 v[26:27], v[186:187], s[36:37]
	v_add_f64 v[2:3], v[236:237], v[2:3]
	s_delay_alu instid0(VALU_DEP_3) | instskip(NEXT) | instid1(VALU_DEP_3)
	v_add_f64 v[20:21], v[30:31], v[20:21]
	v_fma_f64 v[16:17], v[184:185], s[28:29], -v[26:27]
	v_fma_f64 v[236:237], v[184:185], s[28:29], v[26:27]
	v_mul_f64 v[30:31], v[194:195], s[18:19]
	s_delay_alu instid0(VALU_DEP_3) | instskip(SKIP_4) | instid1(VALU_DEP_4)
	v_add_f64 v[0:1], v[16:17], v[0:1]
	v_fma_f64 v[16:17], v[209:210], s[22:23], v[18:19]
	v_fma_f64 v[18:19], v[203:204], s[10:11], v[22:23]
	v_add_f64 v[2:3], v[236:237], v[2:3]
	v_fma_f64 v[236:237], v[192:193], s[2:3], v[30:31]
	v_add_f64 v[16:17], v[136:137], v[16:17]
	s_delay_alu instid0(VALU_DEP_2) | instskip(SKIP_1) | instid1(VALU_DEP_3)
	v_add_f64 v[238:239], v[236:237], v[2:3]
	v_mul_f64 v[2:3], v[190:191], s[18:19]
	v_add_f64 v[16:17], v[18:19], v[16:17]
	v_fma_f64 v[18:19], v[164:165], s[0:1], v[243:244]
	s_delay_alu instid0(VALU_DEP_3) | instskip(SKIP_1) | instid1(VALU_DEP_3)
	v_fma_f64 v[236:237], v[188:189], s[2:3], -v[2:3]
	v_fma_f64 v[2:3], v[188:189], s[2:3], v[2:3]
	v_add_f64 v[16:17], v[18:19], v[16:17]
	v_fma_f64 v[18:19], v[152:153], s[20:21], v[247:248]
	v_fma_f64 v[247:248], v[203:204], s[28:29], -v[240:241]
	v_add_f64 v[236:237], v[236:237], v[20:21]
	s_delay_alu instid0(VALU_DEP_3) | instskip(SKIP_2) | instid1(VALU_DEP_2)
	v_add_f64 v[16:17], v[18:19], v[16:17]
	v_fma_f64 v[18:19], v[156:157], s[16:17], v[251:252]
	v_mul_f64 v[251:252], v[197:198], s[24:25]
	v_add_f64 v[16:17], v[18:19], v[16:17]
	v_fma_f64 v[18:19], v[168:169], s[26:27], v[24:25]
	s_delay_alu instid0(VALU_DEP_1) | instskip(SKIP_1) | instid1(VALU_DEP_1)
	v_add_f64 v[16:17], v[18:19], v[16:17]
	v_fma_f64 v[18:19], v[160:161], s[28:29], v[28:29]
	v_add_f64 v[16:17], v[18:19], v[16:17]
	v_fma_f64 v[18:19], v[192:193], s[2:3], -v[30:31]
	s_delay_alu instid0(VALU_DEP_2) | instskip(NEXT) | instid1(VALU_DEP_2)
	v_add_f64 v[243:244], v[2:3], v[16:17]
	v_add_f64 v[245:246], v[18:19], v[0:1]
	v_mul_f64 v[0:1], v[213:214], s[44:45]
	v_mul_f64 v[16:17], v[207:208], s[36:37]
	s_delay_alu instid0(VALU_DEP_2) | instskip(NEXT) | instid1(VALU_DEP_2)
	v_fma_f64 v[2:3], v[211:212], s[16:17], v[0:1]
	v_fma_f64 v[18:19], v[201:202], s[28:29], v[16:17]
	v_fma_f64 v[0:1], v[211:212], s[16:17], -v[0:1]
	v_fma_f64 v[16:17], v[201:202], s[28:29], -v[16:17]
	s_delay_alu instid0(VALU_DEP_4) | instskip(NEXT) | instid1(VALU_DEP_3)
	v_add_f64 v[2:3], v[138:139], v[2:3]
	v_add_f64 v[0:1], v[138:139], v[0:1]
	s_delay_alu instid0(VALU_DEP_2) | instskip(SKIP_1) | instid1(VALU_DEP_3)
	v_add_f64 v[2:3], v[18:19], v[2:3]
	v_mul_f64 v[18:19], v[199:200], s[24:25]
	v_add_f64 v[0:1], v[16:17], v[0:1]
	s_delay_alu instid0(VALU_DEP_2) | instskip(SKIP_3) | instid1(VALU_DEP_4)
	v_fma_f64 v[20:21], v[166:167], s[10:11], v[18:19]
	v_fma_f64 v[16:17], v[166:167], s[10:11], -v[18:19]
	v_fma_f64 v[18:19], v[203:204], s[28:29], v[240:241]
	v_dual_mov_b32 v240, v5 :: v_dual_mov_b32 v241, v4
	v_add_f64 v[2:3], v[20:21], v[2:3]
	v_mul_f64 v[20:21], v[174:175], s[8:9]
	v_add_f64 v[0:1], v[16:17], v[0:1]
	s_delay_alu instid0(VALU_DEP_2) | instskip(SKIP_2) | instid1(VALU_DEP_3)
	v_fma_f64 v[22:23], v[172:173], s[0:1], v[20:21]
	v_fma_f64 v[16:17], v[172:173], s[0:1], -v[20:21]
	v_mul_f64 v[20:21], v[207:208], s[44:45]
	v_add_f64 v[2:3], v[22:23], v[2:3]
	v_mul_f64 v[22:23], v[178:179], s[50:51]
	s_delay_alu instid0(VALU_DEP_4) | instskip(NEXT) | instid1(VALU_DEP_2)
	v_add_f64 v[0:1], v[16:17], v[0:1]
	v_fma_f64 v[24:25], v[176:177], s[2:3], v[22:23]
	v_fma_f64 v[16:17], v[176:177], s[2:3], -v[22:23]
	v_fma_f64 v[22:23], v[201:202], s[16:17], -v[20:21]
	s_delay_alu instid0(VALU_DEP_3) | instskip(SKIP_1) | instid1(VALU_DEP_4)
	v_add_f64 v[2:3], v[24:25], v[2:3]
	v_mul_f64 v[24:25], v[182:183], s[46:47]
	v_add_f64 v[0:1], v[16:17], v[0:1]
	s_delay_alu instid0(VALU_DEP_2) | instskip(SKIP_1) | instid1(VALU_DEP_2)
	v_fma_f64 v[26:27], v[180:181], s[20:21], v[24:25]
	v_fma_f64 v[16:17], v[180:181], s[20:21], -v[24:25]
	v_add_f64 v[2:3], v[26:27], v[2:3]
	v_mul_f64 v[26:27], v[186:187], s[38:39]
	s_delay_alu instid0(VALU_DEP_3) | instskip(NEXT) | instid1(VALU_DEP_2)
	v_add_f64 v[0:1], v[16:17], v[0:1]
	v_fma_f64 v[28:29], v[184:185], s[22:23], v[26:27]
	v_fma_f64 v[16:17], v[184:185], s[22:23], -v[26:27]
	s_delay_alu instid0(VALU_DEP_2) | instskip(SKIP_1) | instid1(VALU_DEP_3)
	v_add_f64 v[2:3], v[28:29], v[2:3]
	v_mul_f64 v[28:29], v[215:216], s[44:45]
	v_add_f64 v[0:1], v[16:17], v[0:1]
	s_delay_alu instid0(VALU_DEP_2) | instskip(SKIP_1) | instid1(VALU_DEP_2)
	v_fma_f64 v[30:31], v[209:210], s[16:17], -v[28:29]
	v_fma_f64 v[16:17], v[209:210], s[16:17], v[28:29]
	v_add_f64 v[30:31], v[136:137], v[30:31]
	s_delay_alu instid0(VALU_DEP_2) | instskip(NEXT) | instid1(VALU_DEP_2)
	v_add_f64 v[16:17], v[136:137], v[16:17]
	v_add_f64 v[30:31], v[247:248], v[30:31]
	v_fma_f64 v[247:248], v[164:165], s[10:11], -v[251:252]
	s_delay_alu instid0(VALU_DEP_3) | instskip(SKIP_1) | instid1(VALU_DEP_3)
	v_add_f64 v[16:17], v[18:19], v[16:17]
	v_fma_f64 v[18:19], v[164:165], s[10:11], v[251:252]
	v_add_f64 v[30:31], v[247:248], v[30:31]
	v_fma_f64 v[247:248], v[152:153], s[0:1], -v[253:254]
	s_delay_alu instid0(VALU_DEP_3) | instskip(SKIP_1) | instid1(VALU_DEP_3)
	v_add_f64 v[16:17], v[18:19], v[16:17]
	v_fma_f64 v[18:19], v[152:153], s[0:1], v[253:254]
	v_add_f64 v[30:31], v[247:248], v[30:31]
	s_delay_alu instid0(VALU_DEP_2) | instskip(SKIP_1) | instid1(VALU_DEP_3)
	v_add_f64 v[16:17], v[18:19], v[16:17]
	v_fma_f64 v[18:19], v[156:157], s[2:3], v[32:33]
	v_add_f64 v[30:31], v[34:35], v[30:31]
	v_mul_f64 v[34:35], v[170:171], s[46:47]
	s_delay_alu instid0(VALU_DEP_3) | instskip(NEXT) | instid1(VALU_DEP_2)
	v_add_f64 v[16:17], v[18:19], v[16:17]
	v_fma_f64 v[247:248], v[168:169], s[20:21], -v[34:35]
	v_fma_f64 v[18:19], v[168:169], s[20:21], v[34:35]
	s_delay_alu instid0(VALU_DEP_2) | instskip(NEXT) | instid1(VALU_DEP_2)
	v_add_f64 v[30:31], v[247:248], v[30:31]
	v_add_f64 v[16:17], v[18:19], v[16:17]
	v_fma_f64 v[18:19], v[160:161], s[22:23], v[36:37]
	s_delay_alu instid0(VALU_DEP_3) | instskip(SKIP_1) | instid1(VALU_DEP_3)
	v_add_f64 v[30:31], v[38:39], v[30:31]
	v_mul_f64 v[38:39], v[194:195], s[34:35]
	v_add_f64 v[16:17], v[18:19], v[16:17]
	s_delay_alu instid0(VALU_DEP_2) | instskip(SKIP_1) | instid1(VALU_DEP_2)
	v_fma_f64 v[247:248], v[192:193], s[26:27], v[38:39]
	v_fma_f64 v[18:19], v[192:193], s[26:27], -v[38:39]
	v_add_f64 v[249:250], v[247:248], v[2:3]
	v_mul_f64 v[2:3], v[190:191], s[34:35]
	s_delay_alu instid0(VALU_DEP_3) | instskip(SKIP_1) | instid1(VALU_DEP_3)
	v_add_f64 v[253:254], v[18:19], v[0:1]
	v_mul_f64 v[0:1], v[213:214], s[40:41]
	v_fma_f64 v[247:248], v[188:189], s[26:27], -v[2:3]
	v_fma_f64 v[2:3], v[188:189], s[26:27], v[2:3]
	s_delay_alu instid0(VALU_DEP_2) | instskip(NEXT) | instid1(VALU_DEP_2)
	v_add_f64 v[247:248], v[247:248], v[30:31]
	v_add_f64 v[251:252], v[2:3], v[16:17]
	v_fma_f64 v[2:3], v[211:212], s[26:27], v[0:1]
	v_fma_f64 v[0:1], v[211:212], s[26:27], -v[0:1]
	v_mul_f64 v[16:17], v[215:216], s[40:41]
	s_delay_alu instid0(VALU_DEP_3) | instskip(NEXT) | instid1(VALU_DEP_3)
	v_add_f64 v[2:3], v[138:139], v[2:3]
	v_add_f64 v[0:1], v[138:139], v[0:1]
	s_delay_alu instid0(VALU_DEP_3) | instskip(SKIP_1) | instid1(VALU_DEP_3)
	v_fma_f64 v[18:19], v[209:210], s[26:27], -v[16:17]
	v_fma_f64 v[16:17], v[209:210], s[26:27], v[16:17]
	v_add_f64 v[0:1], v[22:23], v[0:1]
	v_mul_f64 v[22:23], v[199:200], s[48:49]
	s_delay_alu instid0(VALU_DEP_3) | instskip(SKIP_1) | instid1(VALU_DEP_3)
	v_add_f64 v[16:17], v[136:137], v[16:17]
	v_add_f64 v[18:19], v[136:137], v[18:19]
	v_fma_f64 v[24:25], v[166:167], s[22:23], -v[22:23]
	s_delay_alu instid0(VALU_DEP_1) | instskip(SKIP_1) | instid1(VALU_DEP_1)
	v_add_f64 v[0:1], v[24:25], v[0:1]
	v_mul_f64 v[24:25], v[174:175], s[36:37]
	v_fma_f64 v[26:27], v[172:173], s[28:29], -v[24:25]
	s_delay_alu instid0(VALU_DEP_1) | instskip(SKIP_1) | instid1(VALU_DEP_1)
	v_add_f64 v[0:1], v[26:27], v[0:1]
	v_mul_f64 v[26:27], v[178:179], s[30:31]
	;; [unrolled: 4-line block ×5, first 2 shown]
	v_fma_f64 v[34:35], v[203:204], s[16:17], v[32:33]
	s_delay_alu instid0(VALU_DEP_1) | instskip(SKIP_1) | instid1(VALU_DEP_1)
	v_add_f64 v[16:17], v[34:35], v[16:17]
	v_mul_f64 v[34:35], v[197:198], s[48:49]
	v_fma_f64 v[36:37], v[164:165], s[22:23], v[34:35]
	s_delay_alu instid0(VALU_DEP_1) | instskip(SKIP_3) | instid1(VALU_DEP_3)
	v_add_f64 v[16:17], v[36:37], v[16:17]
	v_mul_f64 v[36:37], v[154:155], s[36:37]
	v_mul_f64 v[154:155], v[170:171], s[24:25]
	;; [unrolled: 1-line block ×3, first 2 shown]
	v_fma_f64 v[38:39], v[152:153], s[28:29], v[36:37]
	s_delay_alu instid0(VALU_DEP_1) | instskip(SKIP_3) | instid1(VALU_DEP_3)
	v_add_f64 v[16:17], v[38:39], v[16:17]
	v_mul_f64 v[38:39], v[158:159], s[30:31]
	v_mul_f64 v[158:159], v[162:163], s[18:19]
	;; [unrolled: 1-line block ×3, first 2 shown]
	v_fma_f64 v[136:137], v[156:157], s[20:21], v[38:39]
	s_delay_alu instid0(VALU_DEP_1) | instskip(SKIP_1) | instid1(VALU_DEP_1)
	v_add_f64 v[16:17], v[136:137], v[16:17]
	v_fma_f64 v[136:137], v[168:169], s[10:11], v[154:155]
	v_add_f64 v[16:17], v[136:137], v[16:17]
	v_fma_f64 v[136:137], v[160:161], s[2:3], v[158:159]
	s_delay_alu instid0(VALU_DEP_1) | instskip(SKIP_1) | instid1(VALU_DEP_1)
	v_add_f64 v[16:17], v[136:137], v[16:17]
	v_fma_f64 v[136:137], v[192:193], s[0:1], -v[162:163]
	v_add_f64 v[138:139], v[136:137], v[0:1]
	v_fma_f64 v[0:1], v[188:189], s[0:1], v[170:171]
	s_delay_alu instid0(VALU_DEP_1) | instskip(SKIP_3) | instid1(VALU_DEP_3)
	v_add_f64 v[136:137], v[0:1], v[16:17]
	v_fma_f64 v[0:1], v[201:202], s[16:17], v[20:21]
	v_fma_f64 v[16:17], v[203:204], s[16:17], -v[32:33]
	v_fma_f64 v[20:21], v[166:167], s[22:23], v[22:23]
	v_add_f64 v[0:1], v[0:1], v[2:3]
	v_fma_f64 v[2:3], v[164:165], s[22:23], -v[34:35]
	s_delay_alu instid0(VALU_DEP_4) | instskip(SKIP_1) | instid1(VALU_DEP_4)
	v_add_f64 v[16:17], v[16:17], v[18:19]
	v_fma_f64 v[18:19], v[172:173], s[28:29], v[24:25]
	v_add_f64 v[0:1], v[20:21], v[0:1]
	v_fma_f64 v[20:21], v[152:153], s[28:29], -v[36:37]
	s_delay_alu instid0(VALU_DEP_4) | instskip(SKIP_1) | instid1(VALU_DEP_4)
	v_add_f64 v[2:3], v[2:3], v[16:17]
	v_fma_f64 v[16:17], v[176:177], s[20:21], v[26:27]
	v_add_f64 v[0:1], v[18:19], v[0:1]
	v_fma_f64 v[18:19], v[156:157], s[20:21], -v[38:39]
	s_delay_alu instid0(VALU_DEP_4) | instskip(SKIP_1) | instid1(VALU_DEP_4)
	v_add_f64 v[2:3], v[20:21], v[2:3]
	v_fma_f64 v[20:21], v[180:181], s[10:11], v[28:29]
	v_add_f64 v[0:1], v[16:17], v[0:1]
	v_fma_f64 v[16:17], v[168:169], s[10:11], -v[154:155]
	s_delay_alu instid0(VALU_DEP_4) | instskip(SKIP_1) | instid1(VALU_DEP_4)
	v_add_f64 v[2:3], v[18:19], v[2:3]
	v_fma_f64 v[18:19], v[184:185], s[2:3], v[30:31]
	v_add_f64 v[0:1], v[20:21], v[0:1]
	v_fma_f64 v[20:21], v[160:161], s[2:3], -v[158:159]
	s_delay_alu instid0(VALU_DEP_4) | instskip(SKIP_1) | instid1(VALU_DEP_4)
	v_add_f64 v[2:3], v[16:17], v[2:3]
	v_fma_f64 v[16:17], v[192:193], s[0:1], v[162:163]
	v_add_f64 v[0:1], v[18:19], v[0:1]
	v_fma_f64 v[18:19], v[188:189], s[0:1], -v[170:171]
	s_delay_alu instid0(VALU_DEP_4) | instskip(NEXT) | instid1(VALU_DEP_3)
	v_add_f64 v[2:3], v[20:21], v[2:3]
	v_add_f64 v[154:155], v[16:17], v[0:1]
	v_mul_lo_u16 v0, v242, 17
	s_delay_alu instid0(VALU_DEP_3) | instskip(SKIP_2) | instid1(VALU_DEP_1)
	v_add_f64 v[152:153], v[18:19], v[2:3]
	scratch_load_b128 v[16:19], off, off offset:136 ; 16-byte Folded Reload
	v_and_b32_e32 v0, 0xffff, v0
	v_lshlrev_b32_e32 v0, 4, v0
	s_waitcnt vmcnt(0)
	ds_store_b128 v0, v[16:19]
	ds_store_b128 v0, v[136:139] offset:16
	ds_store_b128 v0, v[251:254] offset:32
	;; [unrolled: 1-line block ×8, first 2 shown]
	scratch_load_b128 v[1:4], off, off offset:152 ; 16-byte Folded Reload
	s_waitcnt vmcnt(0)
	ds_store_b128 v0, v[1:4] offset:144
	ds_store_b128 v0, v[140:143] offset:160
	ds_store_b128 v0, v[148:151] offset:176
	ds_store_b128 v0, v[219:222] offset:192
	ds_store_b128 v0, v[228:231] offset:208
	ds_store_b128 v0, v[236:239] offset:224
	ds_store_b128 v0, v[247:250] offset:240
	ds_store_b128 v0, v[152:155] offset:256
.LBB0_13:
	s_or_b32 exec_lo, exec_lo, s33
	s_waitcnt lgkmcnt(0)
	s_waitcnt_vscnt null, 0x0
	s_barrier
	buffer_gl0_inv
	ds_load_b128 v[0:3], v217 offset:13328
	ds_load_b128 v[4:7], v217 offset:15232
	;; [unrolled: 1-line block ×8, first 2 shown]
	s_clause 0x5
	scratch_load_b128 v[166:169], off, off offset:64
	scratch_load_b128 v[170:173], off, off offset:80
	;; [unrolled: 1-line block ×3, first 2 shown]
	scratch_load_b128 v[162:165], off, off
	scratch_load_b128 v[176:179], off, off offset:48
	scratch_load_b128 v[180:183], off, off offset:96
	s_mov_b32 s10, 0x37e14327
	s_mov_b32 s0, 0x36b3c0b5
	s_mov_b32 s16, 0xe976ee23
	s_mov_b32 s11, 0x3fe948f6
	s_mov_b32 s1, 0x3fac98ee
	s_mov_b32 s17, 0x3fe11646
	s_mov_b32 s2, 0x429ad128
	s_mov_b32 s3, 0xbfebfeb5
	s_mov_b32 s8, 0xaaaaaaaa
	s_mov_b32 s18, 0x5476071b
	s_mov_b32 s24, 0xb247c609
	s_mov_b32 s9, 0xbff2aaaa
	s_mov_b32 s19, 0x3fe77f67
	s_mov_b32 s25, 0xbfd5d0dc
	s_mov_b32 s21, 0xbfe77f67
	s_mov_b32 s23, 0x3fd5d0dc
	s_mov_b32 s20, s18
	s_mov_b32 s22, s24
	s_mov_b32 s26, 0x37c3f68c
	s_mov_b32 s27, 0xbfdc38aa
	s_waitcnt vmcnt(5) lgkmcnt(5)
	v_mul_f64 v[24:25], v[168:169], v[10:11]
	s_waitcnt vmcnt(4) lgkmcnt(4)
	v_mul_f64 v[28:29], v[172:173], v[14:15]
	v_mul_f64 v[30:31], v[172:173], v[12:13]
	scratch_load_b128 v[172:175], off, off offset:32 ; 16-byte Folded Reload
	s_waitcnt vmcnt(4)
	v_mul_f64 v[16:17], v[160:161], v[2:3]
	v_mul_f64 v[18:19], v[160:161], v[0:1]
	s_waitcnt vmcnt(3)
	v_mul_f64 v[20:21], v[164:165], v[6:7]
	v_mul_f64 v[22:23], v[164:165], v[4:5]
	;; [unrolled: 1-line block ×3, first 2 shown]
	s_waitcnt vmcnt(1) lgkmcnt(3)
	v_mul_f64 v[32:33], v[182:183], v[138:139]
	v_mul_f64 v[34:35], v[182:183], v[136:137]
	s_waitcnt lgkmcnt(2)
	v_mul_f64 v[36:37], v[178:179], v[142:143]
	v_mul_f64 v[38:39], v[178:179], v[140:141]
	v_fma_f64 v[164:165], v[166:167], v[8:9], v[24:25]
	v_fma_f64 v[168:169], v[170:171], v[12:13], v[28:29]
	v_fma_f64 v[170:171], v[170:171], v[14:15], -v[30:31]
	v_fma_f64 v[156:157], v[158:159], v[0:1], v[16:17]
	v_fma_f64 v[158:159], v[158:159], v[2:3], -v[18:19]
	;; [unrolled: 2-line block ×3, first 2 shown]
	v_fma_f64 v[166:167], v[166:167], v[10:11], -v[26:27]
	ds_load_b128 v[0:3], v217
	ds_load_b128 v[4:7], v217 offset:1904
	ds_load_b128 v[8:11], v217 offset:3808
	ds_load_b128 v[12:15], v217 offset:5712
	ds_load_b128 v[16:19], v217 offset:7616
	ds_load_b128 v[20:23], v217 offset:9520
	s_waitcnt vmcnt(0) lgkmcnt(0)
	s_barrier
	buffer_gl0_inv
	v_fma_f64 v[136:137], v[180:181], v[136:137], v[32:33]
	v_fma_f64 v[138:139], v[180:181], v[138:139], -v[34:35]
	v_fma_f64 v[140:141], v[176:177], v[140:141], v[36:37]
	v_fma_f64 v[142:143], v[176:177], v[142:143], -v[38:39]
	v_add_f64 v[32:33], v[8:9], -v[164:165]
	v_add_f64 v[36:37], v[12:13], -v[168:169]
	;; [unrolled: 1-line block ×12, first 2 shown]
	v_fma_f64 v[8:9], v[8:9], 2.0, -v[32:33]
	v_fma_f64 v[12:13], v[12:13], 2.0, -v[36:37]
	;; [unrolled: 1-line block ×12, first 2 shown]
	v_mul_f64 v[152:153], v[174:175], v[146:147]
	v_mul_f64 v[154:155], v[174:175], v[144:145]
	s_delay_alu instid0(VALU_DEP_2)
	v_fma_f64 v[144:145], v[172:173], v[144:145], v[152:153]
	scratch_load_b32 v152, off, off offset:132 ; 4-byte Folded Reload
	v_fma_f64 v[146:147], v[172:173], v[146:147], -v[154:155]
	s_waitcnt vmcnt(0)
	ds_store_b128 v152, v[0:3]
	ds_store_b128 v152, v[24:27] offset:272
	scratch_load_b32 v0, off, off offset:128 ; 4-byte Folded Reload
	v_add_f64 v[144:145], v[148:149], -v[144:145]
	v_add_f64 v[146:147], v[150:151], -v[146:147]
	s_waitcnt vmcnt(0)
	ds_store_b128 v0, v[4:7]
	ds_store_b128 v0, v[28:31] offset:272
	scratch_load_b32 v0, off, off offset:124 ; 4-byte Folded Reload
	v_fma_f64 v[148:149], v[148:149], 2.0, -v[144:145]
	v_fma_f64 v[150:151], v[150:151], 2.0, -v[146:147]
	s_waitcnt vmcnt(0)
	ds_store_b128 v0, v[8:11]
	ds_store_b128 v0, v[32:35] offset:272
	scratch_load_b32 v0, off, off offset:120 ; 4-byte Folded Reload
	s_waitcnt vmcnt(0)
	ds_store_b128 v0, v[12:15]
	ds_store_b128 v0, v[36:39] offset:272
	scratch_load_b32 v0, off, off offset:116 ; 4-byte Folded Reload
	s_waitcnt vmcnt(0)
	ds_store_b128 v0, v[16:19]
	ds_store_b128 v0, v[136:139] offset:272
	scratch_load_b32 v0, off, off offset:112 ; 4-byte Folded Reload
	s_waitcnt vmcnt(0)
	ds_store_b128 v0, v[20:23]
	ds_store_b128 v0, v[140:143] offset:272
	ds_store_b128 v240, v[148:151]
	ds_store_b128 v240, v[144:147] offset:272
	s_waitcnt lgkmcnt(0)
	s_barrier
	buffer_gl0_inv
	ds_load_b128 v[0:3], v217 offset:3808
	ds_load_b128 v[4:7], v217 offset:7616
	;; [unrolled: 1-line block ×12, first 2 shown]
	s_waitcnt lgkmcnt(11)
	v_mul_f64 v[144:145], v[54:55], v[2:3]
	v_mul_f64 v[54:55], v[54:55], v[0:1]
	s_waitcnt lgkmcnt(10)
	v_mul_f64 v[146:147], v[46:47], v[6:7]
	v_mul_f64 v[46:47], v[46:47], v[4:5]
	;; [unrolled: 3-line block ×9, first 2 shown]
	v_mul_f64 v[162:163], v[78:79], v[34:35]
	v_mul_f64 v[78:79], v[78:79], v[32:33]
	v_fma_f64 v[0:1], v[52:53], v[0:1], v[144:145]
	v_fma_f64 v[2:3], v[52:53], v[2:3], -v[54:55]
	v_fma_f64 v[4:5], v[44:45], v[4:5], v[146:147]
	v_fma_f64 v[6:7], v[44:45], v[6:7], -v[46:47]
	;; [unrolled: 2-line block ×4, first 2 shown]
	s_waitcnt lgkmcnt(1)
	v_mul_f64 v[40:41], v[70:71], v[138:139]
	v_mul_f64 v[42:43], v[70:71], v[136:137]
	s_waitcnt lgkmcnt(0)
	v_mul_f64 v[44:45], v[66:67], v[142:143]
	v_mul_f64 v[46:47], v[66:67], v[140:141]
	v_fma_f64 v[16:17], v[60:61], v[16:17], v[152:153]
	v_fma_f64 v[18:19], v[60:61], v[18:19], -v[62:63]
	v_fma_f64 v[20:21], v[56:57], v[20:21], v[154:155]
	v_fma_f64 v[22:23], v[56:57], v[22:23], -v[58:59]
	;; [unrolled: 2-line block ×6, first 2 shown]
	v_add_f64 v[48:49], v[0:1], v[8:9]
	v_add_f64 v[50:51], v[2:3], v[10:11]
	;; [unrolled: 1-line block ×4, first 2 shown]
	v_fma_f64 v[40:41], v[68:69], v[136:137], v[40:41]
	v_fma_f64 v[42:43], v[68:69], v[138:139], -v[42:43]
	v_fma_f64 v[44:45], v[64:65], v[140:141], v[44:45]
	v_fma_f64 v[46:47], v[64:65], v[142:143], -v[46:47]
	v_add_f64 v[12:13], v[4:5], -v[12:13]
	v_add_f64 v[14:15], v[6:7], -v[14:15]
	v_add_f64 v[8:9], v[0:1], -v[8:9]
	v_add_f64 v[10:11], v[2:3], -v[10:11]
	v_add_f64 v[56:57], v[16:17], v[24:25]
	v_add_f64 v[58:59], v[18:19], v[26:27]
	;; [unrolled: 1-line block ×4, first 2 shown]
	v_add_f64 v[20:21], v[20:21], -v[28:29]
	v_add_f64 v[22:23], v[22:23], -v[30:31]
	v_add_f64 v[64:65], v[36:37], v[32:33]
	v_add_f64 v[66:67], v[38:39], v[34:35]
	v_add_f64 v[32:33], v[32:33], -v[36:37]
	v_add_f64 v[34:35], v[34:35], -v[38:39]
	;; [unrolled: 1-line block ×4, first 2 shown]
	v_add_f64 v[0:1], v[52:53], v[48:49]
	v_add_f64 v[2:3], v[54:55], v[50:51]
	;; [unrolled: 1-line block ×4, first 2 shown]
	v_add_f64 v[28:29], v[44:45], -v[40:41]
	v_add_f64 v[30:31], v[46:47], -v[42:43]
	;; [unrolled: 1-line block ×4, first 2 shown]
	v_add_f64 v[24:25], v[60:61], v[56:57]
	v_add_f64 v[26:27], v[62:63], v[58:59]
	v_add_f64 v[36:37], v[48:49], -v[64:65]
	v_add_f64 v[38:39], v[50:51], -v[66:67]
	;; [unrolled: 1-line block ×10, first 2 shown]
	v_add_f64 v[12:13], v[32:33], v[12:13]
	v_add_f64 v[14:15], v[34:35], v[14:15]
	v_add_f64 v[32:33], v[8:9], -v[32:33]
	v_add_f64 v[34:35], v[10:11], -v[34:35]
	v_add_f64 v[64:65], v[64:65], v[0:1]
	v_add_f64 v[66:67], v[66:67], v[2:3]
	v_add_f64 v[72:73], v[56:57], -v[4:5]
	v_add_f64 v[74:75], v[58:59], -v[6:7]
	;; [unrolled: 1-line block ×6, first 2 shown]
	v_add_f64 v[20:21], v[28:29], v[20:21]
	v_add_f64 v[22:23], v[30:31], v[22:23]
	;; [unrolled: 1-line block ×4, first 2 shown]
	ds_load_b128 v[0:3], v217
	ds_load_b128 v[4:7], v217 offset:1904
	v_mul_f64 v[136:137], v[68:69], s[2:3]
	v_mul_f64 v[36:37], v[36:37], s[10:11]
	v_mul_f64 v[38:39], v[38:39], s[10:11]
	v_mul_f64 v[52:53], v[40:41], s[0:1]
	v_mul_f64 v[54:55], v[42:43], s[0:1]
	v_mul_f64 v[44:45], v[44:45], s[16:17]
	v_mul_f64 v[46:47], v[46:47], s[16:17]
	v_mul_f64 v[138:139], v[70:71], s[2:3]
	v_add_f64 v[28:29], v[16:17], -v[28:29]
	v_add_f64 v[30:31], v[18:19], -v[30:31]
	v_mul_f64 v[140:141], v[80:81], s[2:3]
	v_mul_f64 v[142:143], v[82:83], s[2:3]
	v_add_f64 v[56:57], v[60:61], -v[56:57]
	v_add_f64 v[58:59], v[62:63], -v[58:59]
	v_add_f64 v[8:9], v[12:13], v[8:9]
	v_add_f64 v[10:11], v[14:15], v[10:11]
	s_waitcnt lgkmcnt(0)
	s_barrier
	buffer_gl0_inv
	v_add_f64 v[0:1], v[0:1], v[64:65]
	v_add_f64 v[2:3], v[2:3], v[66:67]
	v_mul_f64 v[72:73], v[72:73], s[10:11]
	v_mul_f64 v[74:75], v[74:75], s[10:11]
	;; [unrolled: 1-line block ×6, first 2 shown]
	v_add_f64 v[12:13], v[20:21], v[16:17]
	v_add_f64 v[14:15], v[22:23], v[18:19]
	;; [unrolled: 1-line block ×4, first 2 shown]
	v_fma_f64 v[16:17], v[40:41], s[0:1], v[36:37]
	v_fma_f64 v[18:19], v[42:43], s[0:1], v[38:39]
	v_fma_f64 v[20:21], v[48:49], s[18:19], -v[52:53]
	v_fma_f64 v[22:23], v[50:51], s[18:19], -v[54:55]
	v_fma_f64 v[40:41], v[32:33], s[24:25], v[44:45]
	v_fma_f64 v[42:43], v[34:35], s[24:25], v[46:47]
	v_fma_f64 v[32:33], v[32:33], s[22:23], -v[136:137]
	v_fma_f64 v[34:35], v[34:35], s[22:23], -v[138:139]
	;; [unrolled: 1-line block ×6, first 2 shown]
	v_fma_f64 v[52:53], v[64:65], s[8:9], v[0:1]
	v_fma_f64 v[54:55], v[66:67], s[8:9], v[2:3]
	;; [unrolled: 1-line block ×6, first 2 shown]
	v_fma_f64 v[68:69], v[80:81], s[2:3], -v[76:77]
	v_fma_f64 v[70:71], v[82:83], s[2:3], -v[78:79]
	;; [unrolled: 1-line block ×4, first 2 shown]
	v_fma_f64 v[24:25], v[24:25], s[8:9], v[4:5]
	v_fma_f64 v[26:27], v[26:27], s[8:9], v[6:7]
	v_fma_f64 v[72:73], v[56:57], s[20:21], -v[72:73]
	v_fma_f64 v[74:75], v[58:59], s[20:21], -v[74:75]
	;; [unrolled: 1-line block ×4, first 2 shown]
	v_fma_f64 v[40:41], v[8:9], s[26:27], v[40:41]
	v_fma_f64 v[42:43], v[10:11], s[26:27], v[42:43]
	;; [unrolled: 1-line block ×6, first 2 shown]
	v_add_f64 v[60:61], v[16:17], v[52:53]
	v_add_f64 v[62:63], v[18:19], v[54:55]
	;; [unrolled: 1-line block ×6, first 2 shown]
	v_fma_f64 v[54:55], v[12:13], s[26:27], v[64:65]
	v_fma_f64 v[52:53], v[14:15], s[26:27], v[66:67]
	;; [unrolled: 1-line block ×6, first 2 shown]
	v_add_f64 v[76:77], v[48:49], v[24:25]
	v_add_f64 v[78:79], v[50:51], v[26:27]
	;; [unrolled: 1-line block ×7, first 2 shown]
	v_add_f64 v[10:11], v[62:63], -v[40:41]
	v_add_f64 v[12:13], v[34:35], v[36:37]
	v_add_f64 v[14:15], v[38:39], -v[32:33]
	v_add_f64 v[16:17], v[20:21], -v[46:47]
	v_add_f64 v[18:19], v[44:45], v[22:23]
	v_add_f64 v[20:21], v[46:47], v[20:21]
	v_add_f64 v[22:23], v[22:23], -v[44:45]
	v_add_f64 v[24:25], v[36:37], -v[34:35]
	v_add_f64 v[26:27], v[32:33], v[38:39]
	v_add_f64 v[28:29], v[60:61], -v[42:43]
	v_add_f64 v[30:31], v[40:41], v[62:63]
	v_add_f64 v[32:33], v[52:53], v[76:77]
	v_add_f64 v[34:35], v[78:79], -v[54:55]
	v_add_f64 v[36:37], v[70:71], v[48:49]
	v_add_f64 v[38:39], v[50:51], -v[68:69]
	v_add_f64 v[40:41], v[56:57], -v[66:67]
	v_add_f64 v[42:43], v[64:65], v[58:59]
	v_add_f64 v[44:45], v[66:67], v[56:57]
	v_add_f64 v[46:47], v[58:59], -v[64:65]
	v_add_f64 v[48:49], v[48:49], -v[70:71]
	v_add_f64 v[50:51], v[68:69], v[50:51]
	v_add_f64 v[52:53], v[76:77], -v[52:53]
	v_add_f64 v[54:55], v[54:55], v[78:79]
	ds_store_b128 v227, v[0:3]
	ds_store_b128 v227, v[8:11] offset:544
	ds_store_b128 v227, v[12:15] offset:1088
	ds_store_b128 v227, v[16:19] offset:1632
	ds_store_b128 v227, v[20:23] offset:2176
	ds_store_b128 v227, v[24:27] offset:2720
	ds_store_b128 v227, v[28:31] offset:3264
	ds_store_b128 v196, v[4:7]
	ds_store_b128 v196, v[32:35] offset:544
	ds_store_b128 v196, v[36:39] offset:1088
	;; [unrolled: 1-line block ×6, first 2 shown]
	s_waitcnt lgkmcnt(0)
	s_barrier
	buffer_gl0_inv
	ds_load_b128 v[0:3], v217 offset:3808
	ds_load_b128 v[4:7], v217 offset:7616
	ds_load_b128 v[8:11], v217 offset:22848
	ds_load_b128 v[12:15], v217 offset:19040
	ds_load_b128 v[16:19], v217 offset:5712
	ds_load_b128 v[20:23], v217 offset:9520
	ds_load_b128 v[24:27], v217 offset:24752
	ds_load_b128 v[28:31], v217 offset:20944
	ds_load_b128 v[32:35], v217 offset:15232
	ds_load_b128 v[36:39], v217 offset:11424
	ds_load_b128 v[40:43], v217 offset:13328
	ds_load_b128 v[44:47], v217 offset:17136
	s_waitcnt lgkmcnt(11)
	v_mul_f64 v[48:49], v[94:95], v[2:3]
	v_mul_f64 v[50:51], v[94:95], v[0:1]
	s_waitcnt lgkmcnt(10)
	v_mul_f64 v[52:53], v[90:91], v[6:7]
	v_mul_f64 v[54:55], v[90:91], v[4:5]
	;; [unrolled: 3-line block ×9, first 2 shown]
	v_mul_f64 v[84:85], v[126:127], v[34:35]
	v_mul_f64 v[86:87], v[126:127], v[32:33]
	v_fma_f64 v[0:1], v[92:93], v[0:1], v[48:49]
	v_fma_f64 v[2:3], v[92:93], v[2:3], -v[50:51]
	v_fma_f64 v[4:5], v[88:89], v[4:5], v[52:53]
	v_fma_f64 v[6:7], v[88:89], v[6:7], -v[54:55]
	;; [unrolled: 2-line block ×4, first 2 shown]
	s_waitcnt lgkmcnt(1)
	v_mul_f64 v[48:49], v[118:119], v[42:43]
	v_mul_f64 v[50:51], v[118:119], v[40:41]
	s_waitcnt lgkmcnt(0)
	v_mul_f64 v[52:53], v[114:115], v[46:47]
	v_mul_f64 v[54:55], v[114:115], v[44:45]
	v_fma_f64 v[16:17], v[108:109], v[16:17], v[64:65]
	v_fma_f64 v[18:19], v[108:109], v[18:19], -v[66:67]
	v_fma_f64 v[20:21], v[104:105], v[20:21], v[68:69]
	v_fma_f64 v[22:23], v[104:105], v[22:23], -v[70:71]
	;; [unrolled: 2-line block ×6, first 2 shown]
	v_add_f64 v[56:57], v[0:1], v[8:9]
	v_add_f64 v[58:59], v[2:3], v[10:11]
	;; [unrolled: 1-line block ×4, first 2 shown]
	v_fma_f64 v[40:41], v[116:117], v[40:41], v[48:49]
	v_fma_f64 v[42:43], v[116:117], v[42:43], -v[50:51]
	v_fma_f64 v[44:45], v[112:113], v[44:45], v[52:53]
	v_fma_f64 v[46:47], v[112:113], v[46:47], -v[54:55]
	v_add_f64 v[12:13], v[4:5], -v[12:13]
	v_add_f64 v[14:15], v[6:7], -v[14:15]
	;; [unrolled: 1-line block ×4, first 2 shown]
	v_add_f64 v[48:49], v[16:17], v[24:25]
	v_add_f64 v[50:51], v[18:19], v[26:27]
	;; [unrolled: 1-line block ×4, first 2 shown]
	v_add_f64 v[20:21], v[20:21], -v[28:29]
	v_add_f64 v[22:23], v[22:23], -v[30:31]
	v_add_f64 v[64:65], v[36:37], v[32:33]
	v_add_f64 v[66:67], v[38:39], v[34:35]
	v_add_f64 v[32:33], v[32:33], -v[36:37]
	v_add_f64 v[34:35], v[34:35], -v[38:39]
	;; [unrolled: 1-line block ×4, first 2 shown]
	v_add_f64 v[0:1], v[60:61], v[56:57]
	v_add_f64 v[2:3], v[62:63], v[58:59]
	;; [unrolled: 1-line block ×4, first 2 shown]
	v_add_f64 v[28:29], v[44:45], -v[40:41]
	v_add_f64 v[30:31], v[46:47], -v[42:43]
	;; [unrolled: 1-line block ×4, first 2 shown]
	v_add_f64 v[24:25], v[52:53], v[48:49]
	v_add_f64 v[26:27], v[54:55], v[50:51]
	v_add_f64 v[36:37], v[56:57], -v[64:65]
	v_add_f64 v[38:39], v[58:59], -v[66:67]
	;; [unrolled: 1-line block ×10, first 2 shown]
	v_add_f64 v[12:13], v[32:33], v[12:13]
	v_add_f64 v[14:15], v[34:35], v[14:15]
	v_add_f64 v[32:33], v[8:9], -v[32:33]
	v_add_f64 v[34:35], v[10:11], -v[34:35]
	v_add_f64 v[64:65], v[64:65], v[0:1]
	v_add_f64 v[66:67], v[66:67], v[2:3]
	v_add_f64 v[72:73], v[48:49], -v[4:5]
	v_add_f64 v[74:75], v[50:51], -v[6:7]
	v_add_f64 v[76:77], v[28:29], -v[20:21]
	v_add_f64 v[78:79], v[30:31], -v[22:23]
	v_add_f64 v[84:85], v[4:5], -v[52:53]
	v_add_f64 v[86:87], v[6:7], -v[54:55]
	v_add_f64 v[20:21], v[28:29], v[20:21]
	v_add_f64 v[22:23], v[30:31], v[22:23]
	;; [unrolled: 1-line block ×4, first 2 shown]
	ds_load_b128 v[0:3], v217
	ds_load_b128 v[4:7], v217 offset:1904
	v_mul_f64 v[88:89], v[68:69], s[2:3]
	v_mul_f64 v[36:37], v[36:37], s[10:11]
	v_mul_f64 v[38:39], v[38:39], s[10:11]
	v_mul_f64 v[60:61], v[40:41], s[0:1]
	v_mul_f64 v[62:63], v[42:43], s[0:1]
	v_mul_f64 v[44:45], v[44:45], s[16:17]
	v_mul_f64 v[46:47], v[46:47], s[16:17]
	v_mul_f64 v[90:91], v[70:71], s[2:3]
	v_add_f64 v[28:29], v[16:17], -v[28:29]
	v_add_f64 v[30:31], v[18:19], -v[30:31]
	v_mul_f64 v[92:93], v[80:81], s[2:3]
	v_mul_f64 v[94:95], v[82:83], s[2:3]
	v_add_f64 v[48:49], v[52:53], -v[48:49]
	v_add_f64 v[50:51], v[54:55], -v[50:51]
	v_add_f64 v[8:9], v[12:13], v[8:9]
	v_add_f64 v[10:11], v[14:15], v[10:11]
	s_waitcnt lgkmcnt(1)
	v_add_f64 v[0:1], v[0:1], v[64:65]
	v_add_f64 v[2:3], v[2:3], v[66:67]
	v_mul_f64 v[72:73], v[72:73], s[10:11]
	v_mul_f64 v[74:75], v[74:75], s[10:11]
	;; [unrolled: 1-line block ×6, first 2 shown]
	v_add_f64 v[12:13], v[20:21], v[16:17]
	v_add_f64 v[14:15], v[22:23], v[18:19]
	s_waitcnt lgkmcnt(0)
	v_add_f64 v[4:5], v[4:5], v[24:25]
	v_add_f64 v[6:7], v[6:7], v[26:27]
	v_fma_f64 v[16:17], v[40:41], s[0:1], v[36:37]
	v_fma_f64 v[18:19], v[42:43], s[0:1], v[38:39]
	v_fma_f64 v[20:21], v[56:57], s[18:19], -v[60:61]
	v_fma_f64 v[22:23], v[58:59], s[18:19], -v[62:63]
	v_fma_f64 v[40:41], v[32:33], s[24:25], v[44:45]
	v_fma_f64 v[42:43], v[34:35], s[24:25], v[46:47]
	v_fma_f64 v[32:33], v[32:33], s[22:23], -v[88:89]
	v_fma_f64 v[34:35], v[34:35], s[22:23], -v[90:91]
	;; [unrolled: 1-line block ×6, first 2 shown]
	v_fma_f64 v[60:61], v[64:65], s[8:9], v[0:1]
	v_fma_f64 v[62:63], v[66:67], s[8:9], v[2:3]
	;; [unrolled: 1-line block ×6, first 2 shown]
	v_fma_f64 v[68:69], v[80:81], s[2:3], -v[76:77]
	v_fma_f64 v[70:71], v[82:83], s[2:3], -v[78:79]
	;; [unrolled: 1-line block ×4, first 2 shown]
	v_fma_f64 v[24:25], v[24:25], s[8:9], v[4:5]
	v_fma_f64 v[26:27], v[26:27], s[8:9], v[6:7]
	v_fma_f64 v[72:73], v[48:49], s[20:21], -v[72:73]
	v_fma_f64 v[74:75], v[50:51], s[20:21], -v[74:75]
	;; [unrolled: 1-line block ×4, first 2 shown]
	v_fma_f64 v[40:41], v[8:9], s[26:27], v[40:41]
	v_fma_f64 v[42:43], v[10:11], s[26:27], v[42:43]
	;; [unrolled: 1-line block ×6, first 2 shown]
	v_add_f64 v[52:53], v[16:17], v[60:61]
	v_add_f64 v[54:55], v[18:19], v[62:63]
	;; [unrolled: 1-line block ×6, first 2 shown]
	v_fma_f64 v[60:61], v[12:13], s[26:27], v[64:65]
	v_fma_f64 v[62:63], v[14:15], s[26:27], v[66:67]
	;; [unrolled: 1-line block ×6, first 2 shown]
	v_add_f64 v[56:57], v[56:57], v[24:25]
	v_add_f64 v[58:59], v[58:59], v[26:27]
	v_add_f64 v[72:73], v[72:73], v[24:25]
	v_add_f64 v[74:75], v[74:75], v[26:27]
	v_add_f64 v[48:49], v[48:49], v[24:25]
	v_add_f64 v[50:51], v[50:51], v[26:27]
	v_add_f64 v[8:9], v[42:43], v[52:53]
	v_add_f64 v[10:11], v[54:55], -v[40:41]
	v_add_f64 v[12:13], v[34:35], v[36:37]
	v_add_f64 v[14:15], v[38:39], -v[32:33]
	v_add_f64 v[24:25], v[36:37], -v[34:35]
	v_add_f64 v[26:27], v[32:33], v[38:39]
	v_add_f64 v[16:17], v[20:21], -v[46:47]
	v_add_f64 v[18:19], v[44:45], v[22:23]
	;; [unrolled: 2-line block ×3, first 2 shown]
	v_add_f64 v[20:21], v[46:47], v[20:21]
	v_add_f64 v[22:23], v[22:23], -v[44:45]
	v_add_f64 v[32:33], v[62:63], v[56:57]
	v_add_f64 v[34:35], v[58:59], -v[60:61]
	;; [unrolled: 2-line block ×3, first 2 shown]
	v_add_f64 v[40:41], v[48:49], -v[66:67]
	v_add_f64 v[42:43], v[64:65], v[50:51]
	v_add_f64 v[44:45], v[66:67], v[48:49]
	v_add_f64 v[46:47], v[50:51], -v[64:65]
	v_add_f64 v[48:49], v[72:73], -v[70:71]
	v_add_f64 v[50:51], v[68:69], v[74:75]
	v_add_f64 v[52:53], v[56:57], -v[62:63]
	v_add_f64 v[54:55], v[60:61], v[58:59]
	ds_store_b128 v217, v[0:3]
	ds_store_b128 v217, v[4:7] offset:1904
	ds_store_b128 v217, v[8:11] offset:3808
	;; [unrolled: 1-line block ×13, first 2 shown]
	s_waitcnt lgkmcnt(0)
	s_barrier
	buffer_gl0_inv
	s_and_b32 exec_lo, exec_lo, vcc_lo
	s_cbranch_execz .LBB0_15
; %bb.14:
	global_load_b128 v[0:3], v255, s[12:13]
	ds_load_b128 v[4:7], v217
	ds_load_b128 v[8:11], v218 offset:1568
	s_mov_b32 s0, 0xca869b81
	s_mov_b32 s1, 0x3f43ab2d
	s_mul_i32 s2, s5, 0x620
	s_mul_i32 s3, s4, 0x620
	s_waitcnt vmcnt(0) lgkmcnt(1)
	v_mul_f64 v[12:13], v[6:7], v[2:3]
	v_mul_f64 v[2:3], v[4:5], v[2:3]
	s_delay_alu instid0(VALU_DEP_2) | instskip(NEXT) | instid1(VALU_DEP_2)
	v_fma_f64 v[4:5], v[4:5], v[0:1], v[12:13]
	v_fma_f64 v[2:3], v[0:1], v[6:7], -v[2:3]
	v_mad_u64_u32 v[6:7], null, s6, v241, 0
	v_mad_u64_u32 v[12:13], null, s4, v242, 0
	s_delay_alu instid0(VALU_DEP_4) | instskip(NEXT) | instid1(VALU_DEP_4)
	v_mul_f64 v[0:1], v[4:5], s[0:1]
	v_mul_f64 v[2:3], v[2:3], s[0:1]
	s_delay_alu instid0(VALU_DEP_3) | instskip(NEXT) | instid1(VALU_DEP_1)
	v_dual_mov_b32 v4, v7 :: v_dual_mov_b32 v5, v13
	v_mad_u64_u32 v[13:14], null, s7, v241, v[4:5]
	v_mad_u64_u32 v[14:15], null, s5, v242, v[5:6]
	s_mul_hi_u32 s5, s4, 0x620
	s_delay_alu instid0(SALU_CYCLE_1) | instskip(NEXT) | instid1(VALU_DEP_2)
	s_add_i32 s2, s5, s2
	v_mov_b32_e32 v7, v13
	s_delay_alu instid0(VALU_DEP_2) | instskip(NEXT) | instid1(VALU_DEP_2)
	v_mov_b32_e32 v13, v14
	v_lshlrev_b64 v[4:5], 4, v[6:7]
	s_delay_alu instid0(VALU_DEP_2) | instskip(NEXT) | instid1(VALU_DEP_2)
	v_lshlrev_b64 v[6:7], 4, v[12:13]
	v_add_co_u32 v4, vcc_lo, s14, v4
	s_delay_alu instid0(VALU_DEP_3) | instskip(NEXT) | instid1(VALU_DEP_2)
	v_add_co_ci_u32_e32 v5, vcc_lo, s15, v5, vcc_lo
	v_add_co_u32 v4, vcc_lo, v4, v6
	s_delay_alu instid0(VALU_DEP_2) | instskip(NEXT) | instid1(VALU_DEP_2)
	v_add_co_ci_u32_e32 v5, vcc_lo, v5, v7, vcc_lo
	v_add_co_u32 v12, vcc_lo, v4, s3
	global_store_b128 v[4:5], v[0:3], off
	global_load_b128 v[0:3], v255, s[12:13] offset:1568
	v_add_co_ci_u32_e32 v13, vcc_lo, s2, v5, vcc_lo
	s_waitcnt vmcnt(0) lgkmcnt(0)
	v_mul_f64 v[6:7], v[10:11], v[2:3]
	v_mul_f64 v[2:3], v[8:9], v[2:3]
	s_delay_alu instid0(VALU_DEP_2) | instskip(NEXT) | instid1(VALU_DEP_2)
	v_fma_f64 v[6:7], v[8:9], v[0:1], v[6:7]
	v_fma_f64 v[2:3], v[0:1], v[10:11], -v[2:3]
	s_delay_alu instid0(VALU_DEP_2) | instskip(NEXT) | instid1(VALU_DEP_2)
	v_mul_f64 v[0:1], v[6:7], s[0:1]
	v_mul_f64 v[2:3], v[2:3], s[0:1]
	global_store_b128 v[12:13], v[0:3], off
	global_load_b128 v[0:3], v255, s[12:13] offset:3136
	ds_load_b128 v[4:7], v218 offset:3136
	ds_load_b128 v[8:11], v218 offset:4704
	s_waitcnt vmcnt(0) lgkmcnt(1)
	v_mul_f64 v[14:15], v[6:7], v[2:3]
	v_mul_f64 v[2:3], v[4:5], v[2:3]
	s_delay_alu instid0(VALU_DEP_2) | instskip(NEXT) | instid1(VALU_DEP_2)
	v_fma_f64 v[4:5], v[4:5], v[0:1], v[14:15]
	v_fma_f64 v[0:1], v[0:1], v[6:7], -v[2:3]
	v_add_co_u32 v6, vcc_lo, v12, s3
	v_add_co_ci_u32_e32 v7, vcc_lo, s2, v13, vcc_lo
	s_delay_alu instid0(VALU_DEP_4) | instskip(NEXT) | instid1(VALU_DEP_4)
	v_mul_f64 v[2:3], v[4:5], s[0:1]
	v_mul_f64 v[4:5], v[0:1], s[0:1]
	v_add_co_u32 v0, s4, s12, v255
	s_delay_alu instid0(VALU_DEP_1) | instskip(NEXT) | instid1(VALU_DEP_2)
	v_add_co_ci_u32_e64 v1, null, s13, 0, s4
	v_add_co_u32 v14, vcc_lo, 0x1000, v0
	s_delay_alu instid0(VALU_DEP_2)
	v_add_co_ci_u32_e32 v15, vcc_lo, 0, v1, vcc_lo
	v_add_co_u32 v16, vcc_lo, v6, s3
	v_add_co_ci_u32_e32 v17, vcc_lo, s2, v7, vcc_lo
	global_store_b128 v[6:7], v[2:5], off
	global_load_b128 v[2:5], v[14:15], off offset:608
	s_waitcnt vmcnt(0) lgkmcnt(0)
	v_mul_f64 v[12:13], v[10:11], v[4:5]
	v_mul_f64 v[4:5], v[8:9], v[4:5]
	s_delay_alu instid0(VALU_DEP_2) | instskip(NEXT) | instid1(VALU_DEP_2)
	v_fma_f64 v[8:9], v[8:9], v[2:3], v[12:13]
	v_fma_f64 v[4:5], v[2:3], v[10:11], -v[4:5]
	s_delay_alu instid0(VALU_DEP_2) | instskip(NEXT) | instid1(VALU_DEP_2)
	v_mul_f64 v[2:3], v[8:9], s[0:1]
	v_mul_f64 v[4:5], v[4:5], s[0:1]
	global_store_b128 v[16:17], v[2:5], off
	global_load_b128 v[2:5], v[14:15], off offset:2176
	ds_load_b128 v[6:9], v218 offset:6272
	ds_load_b128 v[10:13], v218 offset:7840
	s_waitcnt vmcnt(0) lgkmcnt(1)
	v_mul_f64 v[18:19], v[8:9], v[4:5]
	v_mul_f64 v[4:5], v[6:7], v[4:5]
	s_delay_alu instid0(VALU_DEP_2) | instskip(NEXT) | instid1(VALU_DEP_2)
	v_fma_f64 v[6:7], v[6:7], v[2:3], v[18:19]
	v_fma_f64 v[4:5], v[2:3], v[8:9], -v[4:5]
	s_delay_alu instid0(VALU_DEP_2) | instskip(NEXT) | instid1(VALU_DEP_2)
	v_mul_f64 v[2:3], v[6:7], s[0:1]
	v_mul_f64 v[4:5], v[4:5], s[0:1]
	v_add_co_u32 v6, vcc_lo, v16, s3
	v_add_co_ci_u32_e32 v7, vcc_lo, s2, v17, vcc_lo
	global_store_b128 v[6:7], v[2:5], off
	global_load_b128 v[2:5], v[14:15], off offset:3744
	v_add_co_u32 v14, vcc_lo, v6, s3
	v_add_co_ci_u32_e32 v15, vcc_lo, s2, v7, vcc_lo
	v_add_co_u32 v16, vcc_lo, 0x2000, v0
	v_add_co_ci_u32_e32 v17, vcc_lo, 0, v1, vcc_lo
	s_waitcnt vmcnt(0) lgkmcnt(0)
	v_mul_f64 v[8:9], v[12:13], v[4:5]
	v_mul_f64 v[4:5], v[10:11], v[4:5]
	s_delay_alu instid0(VALU_DEP_2) | instskip(NEXT) | instid1(VALU_DEP_2)
	v_fma_f64 v[8:9], v[10:11], v[2:3], v[8:9]
	v_fma_f64 v[4:5], v[2:3], v[12:13], -v[4:5]
	s_delay_alu instid0(VALU_DEP_2) | instskip(NEXT) | instid1(VALU_DEP_2)
	v_mul_f64 v[2:3], v[8:9], s[0:1]
	v_mul_f64 v[4:5], v[4:5], s[0:1]
	global_store_b128 v[14:15], v[2:5], off
	global_load_b128 v[2:5], v[16:17], off offset:1216
	ds_load_b128 v[6:9], v218 offset:9408
	ds_load_b128 v[10:13], v218 offset:10976
	s_waitcnt vmcnt(0) lgkmcnt(1)
	v_mul_f64 v[18:19], v[8:9], v[4:5]
	v_mul_f64 v[4:5], v[6:7], v[4:5]
	s_delay_alu instid0(VALU_DEP_2) | instskip(NEXT) | instid1(VALU_DEP_2)
	v_fma_f64 v[6:7], v[6:7], v[2:3], v[18:19]
	v_fma_f64 v[4:5], v[2:3], v[8:9], -v[4:5]
	s_delay_alu instid0(VALU_DEP_2) | instskip(NEXT) | instid1(VALU_DEP_2)
	v_mul_f64 v[2:3], v[6:7], s[0:1]
	v_mul_f64 v[4:5], v[4:5], s[0:1]
	v_add_co_u32 v6, vcc_lo, v14, s3
	v_add_co_ci_u32_e32 v7, vcc_lo, s2, v15, vcc_lo
	s_delay_alu instid0(VALU_DEP_2) | instskip(NEXT) | instid1(VALU_DEP_2)
	v_add_co_u32 v14, vcc_lo, v6, s3
	v_add_co_ci_u32_e32 v15, vcc_lo, s2, v7, vcc_lo
	global_store_b128 v[6:7], v[2:5], off
	global_load_b128 v[2:5], v[16:17], off offset:2784
	v_add_co_u32 v16, vcc_lo, 0x3000, v0
	v_add_co_ci_u32_e32 v17, vcc_lo, 0, v1, vcc_lo
	s_waitcnt vmcnt(0) lgkmcnt(0)
	v_mul_f64 v[8:9], v[12:13], v[4:5]
	v_mul_f64 v[4:5], v[10:11], v[4:5]
	s_delay_alu instid0(VALU_DEP_2) | instskip(NEXT) | instid1(VALU_DEP_2)
	v_fma_f64 v[8:9], v[10:11], v[2:3], v[8:9]
	v_fma_f64 v[4:5], v[2:3], v[12:13], -v[4:5]
	s_delay_alu instid0(VALU_DEP_2) | instskip(NEXT) | instid1(VALU_DEP_2)
	v_mul_f64 v[2:3], v[8:9], s[0:1]
	v_mul_f64 v[4:5], v[4:5], s[0:1]
	global_store_b128 v[14:15], v[2:5], off
	global_load_b128 v[2:5], v[16:17], off offset:256
	ds_load_b128 v[6:9], v218 offset:12544
	ds_load_b128 v[10:13], v218 offset:14112
	s_waitcnt vmcnt(0) lgkmcnt(1)
	v_mul_f64 v[18:19], v[8:9], v[4:5]
	v_mul_f64 v[4:5], v[6:7], v[4:5]
	s_delay_alu instid0(VALU_DEP_2) | instskip(NEXT) | instid1(VALU_DEP_2)
	v_fma_f64 v[6:7], v[6:7], v[2:3], v[18:19]
	v_fma_f64 v[4:5], v[2:3], v[8:9], -v[4:5]
	s_delay_alu instid0(VALU_DEP_2) | instskip(NEXT) | instid1(VALU_DEP_2)
	v_mul_f64 v[2:3], v[6:7], s[0:1]
	v_mul_f64 v[4:5], v[4:5], s[0:1]
	v_add_co_u32 v6, vcc_lo, v14, s3
	v_add_co_ci_u32_e32 v7, vcc_lo, s2, v15, vcc_lo
	s_delay_alu instid0(VALU_DEP_2) | instskip(NEXT) | instid1(VALU_DEP_2)
	v_add_co_u32 v14, vcc_lo, v6, s3
	v_add_co_ci_u32_e32 v15, vcc_lo, s2, v7, vcc_lo
	global_store_b128 v[6:7], v[2:5], off
	global_load_b128 v[2:5], v[16:17], off offset:1824
	s_waitcnt vmcnt(0) lgkmcnt(0)
	v_mul_f64 v[8:9], v[12:13], v[4:5]
	v_mul_f64 v[4:5], v[10:11], v[4:5]
	s_delay_alu instid0(VALU_DEP_2) | instskip(NEXT) | instid1(VALU_DEP_2)
	v_fma_f64 v[8:9], v[10:11], v[2:3], v[8:9]
	v_fma_f64 v[4:5], v[2:3], v[12:13], -v[4:5]
	s_delay_alu instid0(VALU_DEP_2) | instskip(NEXT) | instid1(VALU_DEP_2)
	v_mul_f64 v[2:3], v[8:9], s[0:1]
	v_mul_f64 v[4:5], v[4:5], s[0:1]
	global_store_b128 v[14:15], v[2:5], off
	global_load_b128 v[2:5], v[16:17], off offset:3392
	ds_load_b128 v[6:9], v218 offset:15680
	ds_load_b128 v[10:13], v218 offset:17248
	s_waitcnt vmcnt(0) lgkmcnt(1)
	v_mul_f64 v[16:17], v[8:9], v[4:5]
	v_mul_f64 v[4:5], v[6:7], v[4:5]
	s_delay_alu instid0(VALU_DEP_2) | instskip(NEXT) | instid1(VALU_DEP_2)
	v_fma_f64 v[6:7], v[6:7], v[2:3], v[16:17]
	v_fma_f64 v[4:5], v[2:3], v[8:9], -v[4:5]
	s_delay_alu instid0(VALU_DEP_2) | instskip(NEXT) | instid1(VALU_DEP_2)
	v_mul_f64 v[2:3], v[6:7], s[0:1]
	v_mul_f64 v[4:5], v[4:5], s[0:1]
	v_add_co_u32 v6, vcc_lo, v14, s3
	v_add_co_ci_u32_e32 v7, vcc_lo, s2, v15, vcc_lo
	v_add_co_u32 v14, vcc_lo, 0x4000, v0
	v_add_co_ci_u32_e32 v15, vcc_lo, 0, v1, vcc_lo
	s_delay_alu instid0(VALU_DEP_4) | instskip(NEXT) | instid1(VALU_DEP_4)
	v_add_co_u32 v16, vcc_lo, v6, s3
	v_add_co_ci_u32_e32 v17, vcc_lo, s2, v7, vcc_lo
	global_store_b128 v[6:7], v[2:5], off
	global_load_b128 v[2:5], v[14:15], off offset:864
	s_waitcnt vmcnt(0) lgkmcnt(0)
	v_mul_f64 v[8:9], v[12:13], v[4:5]
	v_mul_f64 v[4:5], v[10:11], v[4:5]
	s_delay_alu instid0(VALU_DEP_2) | instskip(NEXT) | instid1(VALU_DEP_2)
	v_fma_f64 v[8:9], v[10:11], v[2:3], v[8:9]
	v_fma_f64 v[4:5], v[2:3], v[12:13], -v[4:5]
	s_delay_alu instid0(VALU_DEP_2) | instskip(NEXT) | instid1(VALU_DEP_2)
	v_mul_f64 v[2:3], v[8:9], s[0:1]
	v_mul_f64 v[4:5], v[4:5], s[0:1]
	global_store_b128 v[16:17], v[2:5], off
	global_load_b128 v[2:5], v[14:15], off offset:2432
	ds_load_b128 v[6:9], v218 offset:18816
	ds_load_b128 v[10:13], v218 offset:20384
	s_waitcnt vmcnt(0) lgkmcnt(1)
	v_mul_f64 v[18:19], v[8:9], v[4:5]
	v_mul_f64 v[4:5], v[6:7], v[4:5]
	s_delay_alu instid0(VALU_DEP_2) | instskip(NEXT) | instid1(VALU_DEP_2)
	v_fma_f64 v[6:7], v[6:7], v[2:3], v[18:19]
	v_fma_f64 v[4:5], v[2:3], v[8:9], -v[4:5]
	s_delay_alu instid0(VALU_DEP_2) | instskip(NEXT) | instid1(VALU_DEP_2)
	v_mul_f64 v[2:3], v[6:7], s[0:1]
	v_mul_f64 v[4:5], v[4:5], s[0:1]
	v_add_co_u32 v6, vcc_lo, v16, s3
	v_add_co_ci_u32_e32 v7, vcc_lo, s2, v17, vcc_lo
	global_store_b128 v[6:7], v[2:5], off
	global_load_b128 v[2:5], v[14:15], off offset:4000
	v_add_co_u32 v14, vcc_lo, v6, s3
	v_add_co_ci_u32_e32 v15, vcc_lo, s2, v7, vcc_lo
	v_add_co_u32 v16, vcc_lo, 0x5000, v0
	v_add_co_ci_u32_e32 v17, vcc_lo, 0, v1, vcc_lo
	s_waitcnt vmcnt(0) lgkmcnt(0)
	v_mul_f64 v[8:9], v[12:13], v[4:5]
	v_mul_f64 v[4:5], v[10:11], v[4:5]
	s_delay_alu instid0(VALU_DEP_2) | instskip(NEXT) | instid1(VALU_DEP_2)
	v_fma_f64 v[8:9], v[10:11], v[2:3], v[8:9]
	v_fma_f64 v[4:5], v[2:3], v[12:13], -v[4:5]
	s_delay_alu instid0(VALU_DEP_2) | instskip(NEXT) | instid1(VALU_DEP_2)
	v_mul_f64 v[2:3], v[8:9], s[0:1]
	v_mul_f64 v[4:5], v[4:5], s[0:1]
	global_store_b128 v[14:15], v[2:5], off
	global_load_b128 v[2:5], v[16:17], off offset:1472
	ds_load_b128 v[6:9], v218 offset:21952
	ds_load_b128 v[10:13], v218 offset:23520
	s_waitcnt vmcnt(0) lgkmcnt(1)
	v_mul_f64 v[18:19], v[8:9], v[4:5]
	v_mul_f64 v[4:5], v[6:7], v[4:5]
	s_delay_alu instid0(VALU_DEP_2) | instskip(NEXT) | instid1(VALU_DEP_2)
	v_fma_f64 v[6:7], v[6:7], v[2:3], v[18:19]
	v_fma_f64 v[4:5], v[2:3], v[8:9], -v[4:5]
	s_delay_alu instid0(VALU_DEP_2) | instskip(NEXT) | instid1(VALU_DEP_2)
	v_mul_f64 v[2:3], v[6:7], s[0:1]
	v_mul_f64 v[4:5], v[4:5], s[0:1]
	v_add_co_u32 v6, vcc_lo, v14, s3
	v_add_co_ci_u32_e32 v7, vcc_lo, s2, v15, vcc_lo
	global_store_b128 v[6:7], v[2:5], off
	global_load_b128 v[2:5], v[16:17], off offset:3040
	s_waitcnt vmcnt(0) lgkmcnt(0)
	v_mul_f64 v[8:9], v[12:13], v[4:5]
	v_mul_f64 v[4:5], v[10:11], v[4:5]
	s_delay_alu instid0(VALU_DEP_2) | instskip(NEXT) | instid1(VALU_DEP_2)
	v_fma_f64 v[8:9], v[10:11], v[2:3], v[8:9]
	v_fma_f64 v[4:5], v[2:3], v[12:13], -v[4:5]
	s_delay_alu instid0(VALU_DEP_2) | instskip(NEXT) | instid1(VALU_DEP_2)
	v_mul_f64 v[2:3], v[8:9], s[0:1]
	v_mul_f64 v[4:5], v[4:5], s[0:1]
	v_add_co_u32 v8, vcc_lo, v6, s3
	v_add_co_ci_u32_e32 v9, vcc_lo, s2, v7, vcc_lo
	v_add_co_u32 v0, vcc_lo, 0x6000, v0
	v_add_co_ci_u32_e32 v1, vcc_lo, 0, v1, vcc_lo
	global_store_b128 v[8:9], v[2:5], off
	global_load_b128 v[0:3], v[0:1], off offset:512
	ds_load_b128 v[4:7], v218 offset:25088
	s_waitcnt vmcnt(0) lgkmcnt(0)
	v_mul_f64 v[10:11], v[6:7], v[2:3]
	v_mul_f64 v[2:3], v[4:5], v[2:3]
	s_delay_alu instid0(VALU_DEP_2) | instskip(NEXT) | instid1(VALU_DEP_2)
	v_fma_f64 v[4:5], v[4:5], v[0:1], v[10:11]
	v_fma_f64 v[2:3], v[0:1], v[6:7], -v[2:3]
	s_delay_alu instid0(VALU_DEP_2) | instskip(NEXT) | instid1(VALU_DEP_2)
	v_mul_f64 v[0:1], v[4:5], s[0:1]
	v_mul_f64 v[2:3], v[2:3], s[0:1]
	v_add_co_u32 v4, vcc_lo, v8, s3
	v_add_co_ci_u32_e32 v5, vcc_lo, s2, v9, vcc_lo
	global_store_b128 v[4:5], v[0:3], off
.LBB0_15:
	s_nop 0
	s_sendmsg sendmsg(MSG_DEALLOC_VGPRS)
	s_endpgm
	.section	.rodata,"a",@progbits
	.p2align	6, 0x0
	.amdhsa_kernel bluestein_single_fwd_len1666_dim1_dp_op_CI_CI
		.amdhsa_group_segment_fixed_size 26656
		.amdhsa_private_segment_fixed_size 172
		.amdhsa_kernarg_size 104
		.amdhsa_user_sgpr_count 15
		.amdhsa_user_sgpr_dispatch_ptr 0
		.amdhsa_user_sgpr_queue_ptr 0
		.amdhsa_user_sgpr_kernarg_segment_ptr 1
		.amdhsa_user_sgpr_dispatch_id 0
		.amdhsa_user_sgpr_private_segment_size 0
		.amdhsa_wavefront_size32 1
		.amdhsa_uses_dynamic_stack 0
		.amdhsa_enable_private_segment 1
		.amdhsa_system_sgpr_workgroup_id_x 1
		.amdhsa_system_sgpr_workgroup_id_y 0
		.amdhsa_system_sgpr_workgroup_id_z 0
		.amdhsa_system_sgpr_workgroup_info 0
		.amdhsa_system_vgpr_workitem_id 0
		.amdhsa_next_free_vgpr 256
		.amdhsa_next_free_sgpr 58
		.amdhsa_reserve_vcc 1
		.amdhsa_float_round_mode_32 0
		.amdhsa_float_round_mode_16_64 0
		.amdhsa_float_denorm_mode_32 3
		.amdhsa_float_denorm_mode_16_64 3
		.amdhsa_dx10_clamp 1
		.amdhsa_ieee_mode 1
		.amdhsa_fp16_overflow 0
		.amdhsa_workgroup_processor_mode 1
		.amdhsa_memory_ordered 1
		.amdhsa_forward_progress 0
		.amdhsa_shared_vgpr_count 0
		.amdhsa_exception_fp_ieee_invalid_op 0
		.amdhsa_exception_fp_denorm_src 0
		.amdhsa_exception_fp_ieee_div_zero 0
		.amdhsa_exception_fp_ieee_overflow 0
		.amdhsa_exception_fp_ieee_underflow 0
		.amdhsa_exception_fp_ieee_inexact 0
		.amdhsa_exception_int_div_zero 0
	.end_amdhsa_kernel
	.text
.Lfunc_end0:
	.size	bluestein_single_fwd_len1666_dim1_dp_op_CI_CI, .Lfunc_end0-bluestein_single_fwd_len1666_dim1_dp_op_CI_CI
                                        ; -- End function
	.section	.AMDGPU.csdata,"",@progbits
; Kernel info:
; codeLenInByte = 30204
; NumSgprs: 60
; NumVgprs: 256
; ScratchSize: 172
; MemoryBound: 0
; FloatMode: 240
; IeeeMode: 1
; LDSByteSize: 26656 bytes/workgroup (compile time only)
; SGPRBlocks: 7
; VGPRBlocks: 31
; NumSGPRsForWavesPerEU: 60
; NumVGPRsForWavesPerEU: 256
; Occupancy: 4
; WaveLimiterHint : 1
; COMPUTE_PGM_RSRC2:SCRATCH_EN: 1
; COMPUTE_PGM_RSRC2:USER_SGPR: 15
; COMPUTE_PGM_RSRC2:TRAP_HANDLER: 0
; COMPUTE_PGM_RSRC2:TGID_X_EN: 1
; COMPUTE_PGM_RSRC2:TGID_Y_EN: 0
; COMPUTE_PGM_RSRC2:TGID_Z_EN: 0
; COMPUTE_PGM_RSRC2:TIDIG_COMP_CNT: 0
	.text
	.p2alignl 7, 3214868480
	.fill 96, 4, 3214868480
	.type	__hip_cuid_4dd6d0ef5ef4bc1c,@object ; @__hip_cuid_4dd6d0ef5ef4bc1c
	.section	.bss,"aw",@nobits
	.globl	__hip_cuid_4dd6d0ef5ef4bc1c
__hip_cuid_4dd6d0ef5ef4bc1c:
	.byte	0                               ; 0x0
	.size	__hip_cuid_4dd6d0ef5ef4bc1c, 1

	.ident	"AMD clang version 19.0.0git (https://github.com/RadeonOpenCompute/llvm-project roc-6.4.0 25133 c7fe45cf4b819c5991fe208aaa96edf142730f1d)"
	.section	".note.GNU-stack","",@progbits
	.addrsig
	.addrsig_sym __hip_cuid_4dd6d0ef5ef4bc1c
	.amdgpu_metadata
---
amdhsa.kernels:
  - .args:
      - .actual_access:  read_only
        .address_space:  global
        .offset:         0
        .size:           8
        .value_kind:     global_buffer
      - .actual_access:  read_only
        .address_space:  global
        .offset:         8
        .size:           8
        .value_kind:     global_buffer
      - .actual_access:  read_only
        .address_space:  global
        .offset:         16
        .size:           8
        .value_kind:     global_buffer
      - .actual_access:  read_only
        .address_space:  global
        .offset:         24
        .size:           8
        .value_kind:     global_buffer
      - .actual_access:  read_only
        .address_space:  global
        .offset:         32
        .size:           8
        .value_kind:     global_buffer
      - .offset:         40
        .size:           8
        .value_kind:     by_value
      - .address_space:  global
        .offset:         48
        .size:           8
        .value_kind:     global_buffer
      - .address_space:  global
        .offset:         56
        .size:           8
        .value_kind:     global_buffer
      - .address_space:  global
        .offset:         64
        .size:           8
        .value_kind:     global_buffer
      - .address_space:  global
        .offset:         72
        .size:           8
        .value_kind:     global_buffer
      - .offset:         80
        .size:           4
        .value_kind:     by_value
      - .address_space:  global
        .offset:         88
        .size:           8
        .value_kind:     global_buffer
      - .address_space:  global
        .offset:         96
        .size:           8
        .value_kind:     global_buffer
    .group_segment_fixed_size: 26656
    .kernarg_segment_align: 8
    .kernarg_segment_size: 104
    .language:       OpenCL C
    .language_version:
      - 2
      - 0
    .max_flat_workgroup_size: 119
    .name:           bluestein_single_fwd_len1666_dim1_dp_op_CI_CI
    .private_segment_fixed_size: 172
    .sgpr_count:     60
    .sgpr_spill_count: 0
    .symbol:         bluestein_single_fwd_len1666_dim1_dp_op_CI_CI.kd
    .uniform_work_group_size: 1
    .uses_dynamic_stack: false
    .vgpr_count:     256
    .vgpr_spill_count: 42
    .wavefront_size: 32
    .workgroup_processor_mode: 1
amdhsa.target:   amdgcn-amd-amdhsa--gfx1100
amdhsa.version:
  - 1
  - 2
...

	.end_amdgpu_metadata
